;; amdgpu-corpus repo=ROCm/rocFFT kind=compiled arch=gfx950 opt=O3
	.text
	.amdgcn_target "amdgcn-amd-amdhsa--gfx950"
	.amdhsa_code_object_version 6
	.protected	bluestein_single_fwd_len663_dim1_sp_op_CI_CI ; -- Begin function bluestein_single_fwd_len663_dim1_sp_op_CI_CI
	.globl	bluestein_single_fwd_len663_dim1_sp_op_CI_CI
	.p2align	8
	.type	bluestein_single_fwd_len663_dim1_sp_op_CI_CI,@function
bluestein_single_fwd_len663_dim1_sp_op_CI_CI: ; @bluestein_single_fwd_len663_dim1_sp_op_CI_CI
; %bb.0:
	s_load_dwordx4 s[4:7], s[0:1], 0x28
	v_mul_u32_u24_e32 v1, 0x506, v0
	v_mov_b32_e32 v235, 0
	v_add_u32_sdwa v236, s2, v1 dst_sel:DWORD dst_unused:UNUSED_PAD src0_sel:DWORD src1_sel:WORD_1
	v_mov_b32_e32 v237, v235
	s_waitcnt lgkmcnt(0)
	v_cmp_gt_u64_e32 vcc, s[4:5], v[236:237]
	s_and_saveexec_b64 s[2:3], vcc
	s_cbranch_execz .LBB0_23
; %bb.1:
	s_load_dwordx2 s[12:13], s[0:1], 0x0
	s_load_dwordx2 s[14:15], s[0:1], 0x38
	v_mov_b32_e32 v2, 51
	v_mul_lo_u16_sdwa v1, v1, v2 dst_sel:DWORD dst_unused:UNUSED_PAD src0_sel:WORD_1 src1_sel:DWORD
	v_sub_u16_e32 v234, v0, v1
	v_cmp_gt_u16_e64 s[4:5], 39, v234
	v_lshlrev_b32_e32 v80, 3, v234
	s_and_saveexec_b64 s[2:3], s[4:5]
	s_cbranch_execz .LBB0_3
; %bb.2:
	s_load_dwordx2 s[8:9], s[0:1], 0x18
	v_mov_b32_e32 v0, s6
	v_mov_b32_e32 v1, s7
	;; [unrolled: 1-line block ×4, first 2 shown]
	s_waitcnt lgkmcnt(0)
	s_load_dwordx4 s[8:11], s[8:9], 0x0
	v_lshl_add_u64 v[28:29], s[12:13], 0, v[80:81]
	s_waitcnt lgkmcnt(0)
	v_mad_u64_u32 v[2:3], s[6:7], s10, v236, 0
	v_mad_u64_u32 v[4:5], s[6:7], s8, v234, 0
	v_mov_b32_e32 v6, v3
	v_mov_b32_e32 v8, v5
	v_mad_u64_u32 v[6:7], s[6:7], s11, v236, v[6:7]
	v_mov_b32_e32 v3, v6
	v_mad_u64_u32 v[6:7], s[6:7], s9, v234, v[8:9]
	v_mov_b32_e32 v5, v6
	v_lshl_add_u64 v[0:1], v[2:3], 3, v[0:1]
	v_lshl_add_u64 v[4:5], v[4:5], 3, v[0:1]
	v_mad_u64_u32 v[10:11], s[6:7], s8, v70, v[4:5]
	s_mul_i32 s6, s9, 0x138
	s_nop 0
	v_add_u32_e32 v11, s6, v11
	v_mad_u64_u32 v[12:13], s[10:11], s8, v70, v[10:11]
	v_add_u32_e32 v13, s6, v13
	v_mad_u64_u32 v[18:19], s[10:11], s8, v70, v[12:13]
	v_add_u32_e32 v19, s6, v19
	global_load_dwordx2 v[0:1], v[4:5], off
	global_load_dwordx2 v[2:3], v80, s[12:13]
	global_load_dwordx2 v[8:9], v[10:11], off
	global_load_dwordx2 v[6:7], v[12:13], off
	s_nop 0
	global_load_dwordx2 v[4:5], v[18:19], off
	v_mad_u64_u32 v[18:19], s[10:11], s8, v70, v[18:19]
	v_add_u32_e32 v19, s6, v19
	global_load_dwordx2 v[14:15], v80, s[12:13] offset:312
	global_load_dwordx2 v[12:13], v80, s[12:13] offset:624
	;; [unrolled: 1-line block ×8, first 2 shown]
	global_load_dwordx2 v[30:31], v[18:19], off
	v_mad_u64_u32 v[18:19], s[10:11], s8, v70, v[18:19]
	v_add_u32_e32 v19, s6, v19
	global_load_dwordx2 v[32:33], v[18:19], off
	v_mad_u64_u32 v[18:19], s[10:11], s8, v70, v[18:19]
	v_add_u32_e32 v19, s6, v19
	global_load_dwordx2 v[34:35], v[18:19], off
	v_mad_u64_u32 v[18:19], s[10:11], s8, v70, v[18:19]
	v_add_u32_e32 v19, s6, v19
	global_load_dwordx2 v[36:37], v[18:19], off
	v_mad_u64_u32 v[18:19], s[10:11], s8, v70, v[18:19]
	v_add_u32_e32 v19, s6, v19
	global_load_dwordx2 v[38:39], v[18:19], off
	v_mad_u64_u32 v[18:19], s[10:11], s8, v70, v[18:19]
	v_add_u32_e32 v19, s6, v19
	global_load_dwordx2 v[40:41], v[18:19], off
	v_mad_u64_u32 v[18:19], s[10:11], s8, v70, v[18:19]
	v_add_u32_e32 v19, s6, v19
	global_load_dwordx2 v[44:45], v[18:19], off
	v_mad_u64_u32 v[18:19], s[10:11], s8, v70, v[18:19]
	v_add_u32_e32 v19, s6, v19
	global_load_dwordx2 v[42:43], v80, s[12:13] offset:2808
	global_load_dwordx2 v[46:47], v80, s[12:13] offset:3120
	global_load_dwordx2 v[48:49], v[18:19], off
	v_mad_u64_u32 v[18:19], s[10:11], s8, v70, v[18:19]
	v_add_u32_e32 v19, s6, v19
	s_movk_i32 s7, 0x1000
	global_load_dwordx2 v[50:51], v80, s[12:13] offset:3432
	global_load_dwordx2 v[52:53], v[18:19], off
	global_load_dwordx2 v[54:55], v80, s[12:13] offset:3744
	v_mad_u64_u32 v[18:19], s[10:11], s8, v70, v[18:19]
	v_add_co_u32_e32 v28, vcc, s7, v28
	v_add_u32_e32 v19, s6, v19
	s_nop 0
	v_addc_co_u32_e32 v29, vcc, 0, v29, vcc
	global_load_dwordx2 v[56:57], v[18:19], off
	global_load_dwordx2 v[58:59], v80, s[12:13] offset:4056
	global_load_dwordx2 v[60:61], v[28:29], off offset:272
	global_load_dwordx2 v[62:63], v[28:29], off offset:584
	v_mad_u64_u32 v[18:19], s[10:11], s8, v70, v[18:19]
	v_add_u32_e32 v19, s6, v19
	global_load_dwordx2 v[64:65], v[18:19], off
	v_mad_u64_u32 v[18:19], s[10:11], s8, v70, v[18:19]
	v_add_u32_e32 v19, s6, v19
	global_load_dwordx2 v[66:67], v[18:19], off
	global_load_dwordx2 v[68:69], v[28:29], off offset:896
	v_mad_u64_u32 v[18:19], s[8:9], s8, v70, v[18:19]
	v_add_u32_e32 v19, s6, v19
	global_load_dwordx2 v[18:19], v[18:19], off
	s_waitcnt vmcnt(32)
	v_mul_f32_e32 v28, v1, v3
	v_mul_f32_e32 v3, v0, v3
	v_fmac_f32_e32 v28, v0, v2
	v_fma_f32 v29, v1, v2, -v3
	s_waitcnt vmcnt(28)
	v_mul_f32_e32 v0, v9, v15
	v_mul_f32_e32 v1, v8, v15
	v_fmac_f32_e32 v0, v8, v14
	v_fma_f32 v1, v9, v14, -v1
	ds_write2_b64 v80, v[28:29], v[0:1] offset1:39
	s_waitcnt vmcnt(27)
	v_mul_f32_e32 v0, v7, v13
	v_mul_f32_e32 v1, v6, v13
	s_waitcnt vmcnt(26)
	v_mul_f32_e32 v2, v5, v11
	v_mul_f32_e32 v3, v4, v11
	v_fmac_f32_e32 v0, v6, v12
	v_fma_f32 v1, v7, v12, -v1
	v_fmac_f32_e32 v2, v4, v10
	v_fma_f32 v3, v5, v10, -v3
	ds_write2_b64 v80, v[0:1], v[2:3] offset0:78 offset1:117
	s_waitcnt vmcnt(20)
	v_mul_f32_e32 v0, v30, v17
	v_fma_f32 v1, v31, v16, -v0
	v_mul_f32_e32 v0, v31, v17
	s_waitcnt vmcnt(19)
	v_mul_f32_e32 v2, v33, v21
	v_mul_f32_e32 v3, v32, v21
	v_fmac_f32_e32 v0, v30, v16
	v_fmac_f32_e32 v2, v32, v20
	v_fma_f32 v3, v33, v20, -v3
	ds_write2_b64 v80, v[0:1], v[2:3] offset0:156 offset1:195
	s_waitcnt vmcnt(18)
	v_mul_f32_e32 v0, v35, v23
	v_mul_f32_e32 v1, v34, v23
	s_waitcnt vmcnt(17)
	v_mul_f32_e32 v2, v37, v25
	v_mul_f32_e32 v3, v36, v25
	v_fmac_f32_e32 v0, v34, v22
	v_fma_f32 v1, v35, v22, -v1
	v_fmac_f32_e32 v2, v36, v24
	v_fma_f32 v3, v37, v24, -v3
	v_add_u32_e32 v4, 0x400, v80
	ds_write2_b64 v4, v[0:1], v[2:3] offset0:106 offset1:145
	s_waitcnt vmcnt(16)
	v_mul_f32_e32 v0, v39, v27
	v_mul_f32_e32 v1, v38, v27
	s_waitcnt vmcnt(13)
	v_mul_f32_e32 v2, v41, v43
	v_mul_f32_e32 v3, v40, v43
	v_fmac_f32_e32 v0, v38, v26
	v_fma_f32 v1, v39, v26, -v1
	v_fmac_f32_e32 v2, v40, v42
	v_fma_f32 v3, v41, v42, -v3
	v_add_u32_e32 v4, 0x800, v80
	ds_write2_b64 v4, v[0:1], v[2:3] offset0:56 offset1:95
	s_waitcnt vmcnt(12)
	v_mul_f32_e32 v0, v45, v47
	v_mul_f32_e32 v1, v44, v47
	s_waitcnt vmcnt(10)
	v_mul_f32_e32 v2, v49, v51
	v_mul_f32_e32 v3, v48, v51
	v_fmac_f32_e32 v0, v44, v46
	v_fma_f32 v1, v45, v46, -v1
	v_fmac_f32_e32 v2, v48, v50
	v_fma_f32 v3, v49, v50, -v3
	ds_write2_b64 v4, v[0:1], v[2:3] offset0:134 offset1:173
	s_waitcnt vmcnt(8)
	v_mul_f32_e32 v0, v53, v55
	v_mul_f32_e32 v1, v52, v55
	s_waitcnt vmcnt(6)
	v_mul_f32_e32 v2, v57, v59
	v_mul_f32_e32 v3, v56, v59
	v_fmac_f32_e32 v0, v52, v54
	v_fma_f32 v1, v53, v54, -v1
	v_fmac_f32_e32 v2, v56, v58
	v_fma_f32 v3, v57, v58, -v3
	;; [unrolled: 11-line block ×3, first 2 shown]
	v_add_u32_e32 v4, 0x1000, v80
	ds_write2_b64 v4, v[0:1], v[2:3] offset0:34 offset1:73
	s_waitcnt vmcnt(0)
	v_mul_f32_e32 v0, v19, v69
	v_mul_f32_e32 v1, v18, v69
	v_fmac_f32_e32 v0, v18, v68
	v_fma_f32 v1, v19, v68, -v1
	ds_write_b64 v80, v[0:1] offset:4992
.LBB0_3:
	s_or_b64 exec, exec, s[2:3]
	s_load_dwordx2 s[2:3], s[0:1], 0x20
	s_load_dwordx2 s[6:7], s[0:1], 0x8
	v_mov_b32_e32 v0, 0
	v_mov_b32_e32 v1, 0
	s_waitcnt lgkmcnt(0)
	; wave barrier
	s_waitcnt lgkmcnt(0)
                                        ; implicit-def: $vgpr6
                                        ; implicit-def: $vgpr12
                                        ; implicit-def: $vgpr10
                                        ; implicit-def: $vgpr20
                                        ; implicit-def: $vgpr18
                                        ; implicit-def: $vgpr30
                                        ; implicit-def: $vgpr24
                                        ; implicit-def: $vgpr60
	s_and_saveexec_b64 s[0:1], s[4:5]
	s_cbranch_execz .LBB0_5
; %bb.4:
	v_add_u32_e32 v4, 0x400, v80
	v_add_u32_e32 v20, 0x800, v80
	ds_read2_b64 v[0:3], v80 offset1:39
	ds_read2_b64 v[24:27], v80 offset0:78 offset1:117
	ds_read2_b64 v[16:19], v80 offset0:156 offset1:195
	;; [unrolled: 1-line block ×6, first 2 shown]
	v_add_u32_e32 v28, 0x1000, v80
	ds_read2_b64 v[28:31], v28 offset0:34 offset1:73
	ds_read_b64 v[60:61], v80 offset:4992
.LBB0_5:
	s_or_b64 exec, exec, s[0:1]
	s_waitcnt lgkmcnt(0)
	v_pk_add_f32 v[40:41], v[2:3], v[60:61] neg_lo:[0,1] neg_hi:[0,1]
	s_mov_b32 s18, 0xbeb8f4ab
	v_pk_add_f32 v[32:33], v[60:61], v[2:3]
	s_mov_b32 s10, 0x3f6eb680
	v_pk_mul_f32 v[34:35], v[40:41], s[18:19] op_sel_hi:[1,0]
	v_pk_add_f32 v[42:43], v[24:25], v[30:31] neg_lo:[0,1] neg_hi:[0,1]
	s_mov_b32 s36, 0xbf2c7751
	v_pk_fma_f32 v[66:67], v[32:33], s[10:11], v[34:35] op_sel:[0,0,1] op_sel_hi:[1,0,0]
	v_pk_fma_f32 v[64:65], v[32:33], s[10:11], v[34:35] op_sel:[0,0,1] op_sel_hi:[1,0,0] neg_lo:[0,0,1] neg_hi:[0,0,1]
	v_pk_add_f32 v[34:35], v[30:31], v[24:25]
	s_mov_b32 s8, 0x3f3d2fb0
	v_pk_mul_f32 v[36:37], v[40:41], s[36:37] op_sel_hi:[1,0]
	v_pk_mul_f32 v[38:39], v[42:43], s[36:37] op_sel_hi:[1,0]
	v_pk_fma_f32 v[70:71], v[32:33], s[8:9], v[36:37] op_sel:[0,0,1] op_sel_hi:[1,0,0]
	v_pk_fma_f32 v[62:63], v[32:33], s[8:9], v[36:37] op_sel:[0,0,1] op_sel_hi:[1,0,0] neg_lo:[0,0,1] neg_hi:[0,0,1]
	v_mov_b32_e32 v36, v66
	v_mov_b32_e32 v37, v65
	v_pk_fma_f32 v[78:79], v[34:35], s[8:9], v[38:39] op_sel:[0,0,1] op_sel_hi:[1,0,0]
	v_pk_fma_f32 v[76:77], v[34:35], s[8:9], v[38:39] op_sel:[0,0,1] op_sel_hi:[1,0,0] neg_lo:[0,0,1] neg_hi:[0,0,1]
	s_mov_b32 s28, 0xbf7ee86f
	v_pk_add_f32 v[36:37], v[36:37], v[0:1]
	v_mov_b32_e32 v38, v78
	v_mov_b32_e32 v39, v77
	s_mov_b32 s0, 0x3dbcf732
	v_pk_add_f32 v[36:37], v[38:39], v[36:37]
	v_pk_mul_f32 v[38:39], v[42:43], s[28:29] op_sel_hi:[1,0]
	s_mov_b32 s48, 0xbf65296c
	v_pk_fma_f32 v[88:89], v[34:35], s[0:1], v[38:39] op_sel:[0,0,1] op_sel_hi:[1,0,0]
	v_pk_fma_f32 v[68:69], v[34:35], s[0:1], v[38:39] op_sel:[0,0,1] op_sel_hi:[1,0,0] neg_lo:[0,0,1] neg_hi:[0,0,1]
	v_mov_b32_e32 v38, v70
	v_mov_b32_e32 v39, v63
	v_pk_add_f32 v[38:39], v[38:39], v[0:1]
	v_mov_b32_e32 v44, v88
	v_mov_b32_e32 v45, v69
	v_pk_add_f32 v[46:47], v[26:27], v[28:29] neg_lo:[0,1] neg_hi:[0,1]
	v_pk_add_f32 v[38:39], v[44:45], v[38:39]
	s_mov_b32 s16, 0x3ee437d1
	v_pk_add_f32 v[44:45], v[28:29], v[26:27]
	v_pk_mul_f32 v[48:49], v[46:47], s[48:49] op_sel_hi:[1,0]
	s_mov_b32 s22, 0xbf4c4adb
	v_pk_fma_f32 v[94:95], v[44:45], s[16:17], v[48:49] op_sel:[0,0,1] op_sel_hi:[1,0,0]
	v_pk_fma_f32 v[96:97], v[44:45], s[16:17], v[48:49] op_sel:[0,0,1] op_sel_hi:[1,0,0] neg_lo:[0,0,1] neg_hi:[0,0,1]
	v_mov_b32_e32 v48, v94
	v_mov_b32_e32 v49, v97
	v_pk_add_f32 v[36:37], v[48:49], v[36:37]
	s_mov_b32 s20, 0xbf1a4643
	v_pk_mul_f32 v[48:49], v[46:47], s[22:23] op_sel_hi:[1,0]
	v_pk_add_f32 v[114:115], v[16:17], v[22:23] neg_lo:[0,1] neg_hi:[0,1]
	v_pk_fma_f32 v[72:73], v[44:45], s[20:21], v[48:49] op_sel:[0,0,1] op_sel_hi:[1,0,0]
	v_pk_fma_f32 v[74:75], v[44:45], s[20:21], v[48:49] op_sel:[0,0,1] op_sel_hi:[1,0,0] neg_lo:[0,0,1] neg_hi:[0,0,1]
	v_mov_b32_e32 v48, v72
	v_mov_b32_e32 v49, v75
	v_pk_add_f32 v[38:39], v[48:49], v[38:39]
	v_pk_add_f32 v[48:49], v[22:23], v[16:17]
	v_pk_mul_f32 v[50:51], v[114:115], s[28:29] op_sel:[1,0] op_sel_hi:[0,0]
	v_pk_fma_f32 v[100:101], v[48:49], s[0:1], v[50:51] op_sel_hi:[1,0,1]
	v_pk_fma_f32 v[98:99], v[48:49], s[0:1], v[50:51] op_sel_hi:[1,0,1] neg_lo:[0,0,1] neg_hi:[0,0,1]
	v_mov_b32_e32 v50, v100
	v_mov_b32_e32 v51, v99
	s_mov_b32 s34, 0xbe3c28d5
	v_pk_add_f32 v[36:37], v[50:51], v[36:37]
	s_mov_b32 s30, 0xbf7ba420
	v_pk_mul_f32 v[50:51], v[114:115], s[34:35] op_sel:[1,0] op_sel_hi:[0,0]
	v_pk_fma_f32 v[90:91], v[48:49], s[30:31], v[50:51] op_sel_hi:[1,0,1]
	v_pk_fma_f32 v[92:93], v[48:49], s[30:31], v[50:51] op_sel_hi:[1,0,1] neg_lo:[0,0,1] neg_hi:[0,0,1]
	v_mov_b32_e32 v50, v90
	v_mov_b32_e32 v51, v93
	s_mov_b32 s26, 0xbf763a35
	v_pk_add_f32 v[124:125], v[18:19], v[20:21] neg_lo:[0,1] neg_hi:[0,1]
	v_pk_add_f32 v[38:39], v[50:51], v[38:39]
	s_mov_b32 s24, 0xbe8c1d8e
	v_pk_add_f32 v[52:53], v[20:21], v[18:19]
	v_pk_mul_f32 v[50:51], v[124:125], s[26:27] op_sel:[1,0] op_sel_hi:[0,0]
	v_pk_fma_f32 v[110:111], v[52:53], s[24:25], v[50:51] op_sel_hi:[1,0,1]
	v_pk_fma_f32 v[112:113], v[52:53], s[24:25], v[50:51] op_sel_hi:[1,0,1] neg_lo:[0,0,1] neg_hi:[0,0,1]
	v_mov_b32_e32 v50, v110
	v_mov_b32_e32 v51, v113
	s_mov_b32 s52, 0x3f06c442
	v_pk_add_f32 v[36:37], v[50:51], v[36:37]
	s_mov_b32 s38, 0xbf59a7d5
	v_pk_mul_f32 v[50:51], v[124:125], s[52:53] op_sel:[1,0] op_sel_hi:[0,0]
	v_pk_fma_f32 v[102:103], v[52:53], s[38:39], v[50:51] op_sel_hi:[1,0,1]
	v_pk_fma_f32 v[104:105], v[52:53], s[38:39], v[50:51] op_sel_hi:[1,0,1] neg_lo:[0,0,1] neg_hi:[0,0,1]
	v_mov_b32_e32 v50, v102
	v_mov_b32_e32 v51, v105
	v_pk_add_f32 v[138:139], v[8:9], v[14:15] neg_lo:[0,1] neg_hi:[0,1]
	v_pk_add_f32 v[38:39], v[50:51], v[38:39]
	v_pk_add_f32 v[54:55], v[14:15], v[8:9]
	v_pk_mul_f32 v[50:51], v[138:139], s[22:23] op_sel:[1,0] op_sel_hi:[0,0]
	v_pk_fma_f32 v[120:121], v[54:55], s[20:21], v[50:51] op_sel_hi:[1,0,1]
	v_pk_fma_f32 v[122:123], v[54:55], s[20:21], v[50:51] op_sel_hi:[1,0,1] neg_lo:[0,0,1] neg_hi:[0,0,1]
	v_mov_b32_e32 v50, v120
	v_mov_b32_e32 v51, v123
	s_mov_b32 s50, 0x3f763a35
	v_pk_add_f32 v[36:37], v[50:51], v[36:37]
	v_pk_mul_f32 v[50:51], v[138:139], s[50:51] op_sel:[1,0] op_sel_hi:[0,0]
	v_pk_fma_f32 v[106:107], v[54:55], s[24:25], v[50:51] op_sel_hi:[1,0,1]
	v_pk_fma_f32 v[108:109], v[54:55], s[24:25], v[50:51] op_sel_hi:[1,0,1] neg_lo:[0,0,1] neg_hi:[0,0,1]
	v_mov_b32_e32 v50, v106
	v_mov_b32_e32 v51, v109
	s_mov_b32 s42, 0xbf06c442
	v_pk_add_f32 v[144:145], v[10:11], v[12:13] neg_lo:[0,1] neg_hi:[0,1]
	v_pk_add_f32 v[38:39], v[50:51], v[38:39]
	v_pk_add_f32 v[56:57], v[12:13], v[10:11]
	v_pk_mul_f32 v[50:51], v[144:145], s[42:43] op_sel:[1,0] op_sel_hi:[0,0]
	v_pk_fma_f32 v[134:135], v[56:57], s[38:39], v[50:51] op_sel_hi:[1,0,1]
	v_pk_fma_f32 v[136:137], v[56:57], s[38:39], v[50:51] op_sel_hi:[1,0,1] neg_lo:[0,0,1] neg_hi:[0,0,1]
	v_mov_b32_e32 v50, v134
	v_mov_b32_e32 v51, v137
	s_mov_b32 s40, 0x3f65296c
	v_pk_add_f32 v[36:37], v[50:51], v[36:37]
	v_pk_mul_f32 v[50:51], v[144:145], s[40:41] op_sel:[1,0] op_sel_hi:[0,0]
	v_pk_fma_f32 v[116:117], v[56:57], s[16:17], v[50:51] op_sel_hi:[1,0,1]
	v_pk_fma_f32 v[118:119], v[56:57], s[16:17], v[50:51] op_sel_hi:[1,0,1] neg_lo:[0,0,1] neg_hi:[0,0,1]
	v_mov_b32_e32 v50, v116
	v_mov_b32_e32 v51, v119
	v_pk_add_f32 v[158:159], v[4:5], v[6:7] neg_lo:[0,1] neg_hi:[0,1]
	v_pk_add_f32 v[38:39], v[50:51], v[38:39]
	v_pk_add_f32 v[58:59], v[6:7], v[4:5]
	v_pk_mul_f32 v[50:51], v[158:159], s[34:35] op_sel:[1,0] op_sel_hi:[0,0]
	v_pk_fma_f32 v[140:141], v[58:59], s[30:31], v[50:51] op_sel_hi:[1,0,1]
	v_pk_fma_f32 v[142:143], v[58:59], s[30:31], v[50:51] op_sel_hi:[1,0,1] neg_lo:[0,0,1] neg_hi:[0,0,1]
	v_mov_b32_e32 v50, v140
	v_mov_b32_e32 v51, v143
	v_pk_add_f32 v[84:85], v[50:51], v[36:37]
	v_pk_mul_f32 v[36:37], v[40:41], s[48:49] op_sel_hi:[1,0]
	v_pk_mul_f32 v[50:51], v[42:43], s[22:23] op_sel_hi:[1,0]
	v_pk_fma_f32 v[126:127], v[32:33], s[16:17], v[36:37] op_sel:[0,0,1] op_sel_hi:[1,0,0]
	v_pk_fma_f32 v[128:129], v[32:33], s[16:17], v[36:37] op_sel:[0,0,1] op_sel_hi:[1,0,0] neg_lo:[0,0,1] neg_hi:[0,0,1]
	v_mov_b32_e32 v36, v126
	v_mov_b32_e32 v37, v129
	v_pk_fma_f32 v[130:131], v[34:35], s[20:21], v[50:51] op_sel:[0,0,1] op_sel_hi:[1,0,0]
	v_pk_fma_f32 v[132:133], v[34:35], s[20:21], v[50:51] op_sel:[0,0,1] op_sel_hi:[1,0,0] neg_lo:[0,0,1] neg_hi:[0,0,1]
	v_mov_b32_e32 v50, v130
	v_mov_b32_e32 v51, v133
	v_pk_add_f32 v[36:37], v[36:37], v[0:1]
	s_mov_b32 s44, 0x3e3c28d5
	v_pk_add_f32 v[36:37], v[50:51], v[36:37]
	v_pk_mul_f32 v[50:51], v[46:47], s[44:45] op_sel_hi:[1,0]
	s_mov_b32 s46, 0x3f2c7751
	v_pk_fma_f32 v[146:147], v[44:45], s[30:31], v[50:51] op_sel:[0,0,1] op_sel_hi:[1,0,0]
	v_pk_fma_f32 v[148:149], v[44:45], s[30:31], v[50:51] op_sel:[0,0,1] op_sel_hi:[1,0,0] neg_lo:[0,0,1] neg_hi:[0,0,1]
	v_mov_b32_e32 v50, v146
	v_mov_b32_e32 v51, v149
	v_pk_add_f32 v[36:37], v[50:51], v[36:37]
	v_pk_mul_f32 v[50:51], v[114:115], s[50:51] op_sel:[1,0] op_sel_hi:[0,0]
	v_pk_fma_f32 v[150:151], v[48:49], s[24:25], v[50:51] op_sel_hi:[1,0,1]
	v_pk_fma_f32 v[152:153], v[48:49], s[24:25], v[50:51] op_sel_hi:[1,0,1] neg_lo:[0,0,1] neg_hi:[0,0,1]
	v_mov_b32_e32 v50, v150
	v_mov_b32_e32 v51, v153
	v_pk_add_f32 v[36:37], v[50:51], v[36:37]
	v_pk_mul_f32 v[50:51], v[124:125], s[46:47] op_sel:[1,0] op_sel_hi:[0,0]
	v_pk_fma_f32 v[154:155], v[52:53], s[8:9], v[50:51] op_sel_hi:[1,0,1]
	v_pk_fma_f32 v[156:157], v[52:53], s[8:9], v[50:51] op_sel_hi:[1,0,1] neg_lo:[0,0,1] neg_hi:[0,0,1]
	;; [unrolled: 6-line block ×5, first 2 shown]
	v_mov_b32_e32 v50, v176
	v_mov_b32_e32 v51, v179
	v_pk_add_f32 v[36:37], v[50:51], v[36:37]
	v_pk_mul_f32 v[50:51], v[40:41], s[28:29] op_sel_hi:[1,0]
	v_pk_mul_f32 v[174:175], v[42:43], s[34:35] op_sel_hi:[1,0]
	v_pk_fma_f32 v[164:165], v[32:33], s[0:1], v[50:51] op_sel:[0,0,1] op_sel_hi:[1,0,0]
	v_pk_fma_f32 v[166:167], v[32:33], s[0:1], v[50:51] op_sel:[0,0,1] op_sel_hi:[1,0,0] neg_lo:[0,0,1] neg_hi:[0,0,1]
	v_mov_b32_e32 v50, v164
	v_mov_b32_e32 v51, v167
	v_pk_fma_f32 v[172:173], v[34:35], s[30:31], v[174:175] op_sel:[0,0,1] op_sel_hi:[1,0,0]
	v_pk_fma_f32 v[174:175], v[34:35], s[30:31], v[174:175] op_sel:[0,0,1] op_sel_hi:[1,0,0] neg_lo:[0,0,1] neg_hi:[0,0,1]
	v_mov_b32_e32 v180, v172
	v_mov_b32_e32 v181, v175
	v_pk_add_f32 v[50:51], v[50:51], v[0:1]
	v_pk_mul_f32 v[182:183], v[46:47], s[50:51] op_sel_hi:[1,0]
	v_pk_add_f32 v[50:51], v[180:181], v[50:51]
	v_pk_fma_f32 v[180:181], v[44:45], s[24:25], v[182:183] op_sel:[0,0,1] op_sel_hi:[1,0,0]
	v_pk_fma_f32 v[182:183], v[44:45], s[24:25], v[182:183] op_sel:[0,0,1] op_sel_hi:[1,0,0] neg_lo:[0,0,1] neg_hi:[0,0,1]
	s_mov_b32 s54, 0x3eb8f4ab
	v_mov_b32_e32 v184, v180
	v_mov_b32_e32 v185, v183
	v_pk_mul_f32 v[186:187], v[114:115], s[54:55] op_sel:[1,0] op_sel_hi:[0,0]
	v_pk_add_f32 v[50:51], v[184:185], v[50:51]
	v_pk_fma_f32 v[184:185], v[48:49], s[10:11], v[186:187] op_sel_hi:[1,0,1]
	v_pk_fma_f32 v[186:187], v[48:49], s[10:11], v[186:187] op_sel_hi:[1,0,1] neg_lo:[0,0,1] neg_hi:[0,0,1]
	v_mov_b32_e32 v188, v184
	v_mov_b32_e32 v189, v187
	v_pk_mul_f32 v[190:191], v[124:125], s[48:49] op_sel:[1,0] op_sel_hi:[0,0]
	v_pk_add_f32 v[50:51], v[188:189], v[50:51]
	v_pk_fma_f32 v[188:189], v[52:53], s[16:17], v[190:191] op_sel_hi:[1,0,1]
	v_pk_fma_f32 v[190:191], v[52:53], s[16:17], v[190:191] op_sel_hi:[1,0,1] neg_lo:[0,0,1] neg_hi:[0,0,1]
	;; [unrolled: 6-line block ×3, first 2 shown]
	s_mov_b32 s56, 0x3f4c4adb
	v_mov_b32_e32 v196, v192
	v_mov_b32_e32 v197, v195
	v_pk_mul_f32 v[198:199], v[144:145], s[56:57] op_sel:[1,0] op_sel_hi:[0,0]
	v_pk_add_f32 v[50:51], v[196:197], v[50:51]
	v_pk_fma_f32 v[196:197], v[56:57], s[20:21], v[198:199] op_sel_hi:[1,0,1]
	v_pk_fma_f32 v[198:199], v[56:57], s[20:21], v[198:199] op_sel_hi:[1,0,1] neg_lo:[0,0,1] neg_hi:[0,0,1]
	v_mov_b32_e32 v200, v196
	v_mov_b32_e32 v201, v199
	v_pk_add_f32 v[50:51], v[200:201], v[50:51]
	v_pk_mul_f32 v[200:201], v[158:159], s[54:55] op_sel:[1,0] op_sel_hi:[0,0]
	v_pk_fma_f32 v[204:205], v[58:59], s[10:11], v[200:201] op_sel_hi:[1,0,1]
	v_pk_fma_f32 v[206:207], v[58:59], s[10:11], v[200:201] op_sel_hi:[1,0,1] neg_lo:[0,0,1] neg_hi:[0,0,1]
	v_mov_b32_e32 v200, v204
	v_mov_b32_e32 v201, v207
	v_pk_mul_f32 v[202:203], v[158:159], s[46:47] op_sel:[1,0] op_sel_hi:[0,0]
	v_pk_add_f32 v[38:39], v[200:201], v[38:39]
	v_pk_fma_f32 v[200:201], v[58:59], s[8:9], v[202:203] op_sel_hi:[1,0,1]
	v_pk_fma_f32 v[202:203], v[58:59], s[8:9], v[202:203] op_sel_hi:[1,0,1] neg_lo:[0,0,1] neg_hi:[0,0,1]
	v_mov_b32_e32 v208, v200
	v_mov_b32_e32 v209, v203
	v_pk_add_f32 v[50:51], v[208:209], v[50:51]
	v_mul_lo_u16_e32 v140, 17, v234
	s_waitcnt lgkmcnt(0)
	; wave barrier
	s_and_saveexec_b64 s[44:45], s[4:5]
	s_cbranch_execz .LBB0_7
; %bb.6:
	v_pk_add_f32 v[2:3], v[2:3], v[0:1]
	v_mov_b32_e32 v65, v67
	v_pk_add_f32 v[2:3], v[24:25], v[2:3]
	v_mov_b32_e32 v77, v79
	;; [unrolled: 2-line block ×9, first 2 shown]
	v_pk_add_f32 v[2:3], v[12:13], v[2:3]
	v_lshlrev_b32_e32 v81, 3, v140
	v_pk_add_f32 v[2:3], v[14:15], v[2:3]
	v_pk_add_f32 v[14:15], v[64:65], v[0:1]
	;; [unrolled: 1-line block ×12, first 2 shown]
	v_mov_b32_e32 v129, v127
	v_pk_add_f32 v[14:15], v[136:137], v[14:15]
	v_mov_b32_e32 v69, v89
	v_pk_add_f32 v[14:15], v[142:143], v[14:15]
	ds_write2_b64 v81, v[12:13], v[14:15] offset1:1
	v_pk_add_f32 v[12:13], v[62:63], v[0:1]
	v_pk_add_f32 v[14:15], v[128:129], v[0:1]
	v_mov_b32_e32 v133, v131
	v_pk_add_f32 v[12:13], v[68:69], v[12:13]
	v_mov_b32_e32 v75, v73
	;; [unrolled: 2-line block ×13, first 2 shown]
	v_pk_add_f32 v[12:13], v[206:207], v[12:13]
	v_pk_add_f32 v[14:15], v[178:179], v[14:15]
	v_mov_b32_e32 v167, v165
	ds_write2_b64 v81, v[12:13], v[14:15] offset0:2 offset1:3
	v_pk_add_f32 v[12:13], v[166:167], v[0:1]
	v_mov_b32_e32 v175, v173
	v_pk_add_f32 v[12:13], v[174:175], v[12:13]
	v_mov_b32_e32 v183, v181
	;; [unrolled: 2-line block ×7, first 2 shown]
	v_pk_mul_f32 v[14:15], v[40:41], s[26:27] op_sel_hi:[1,0]
	v_pk_add_f32 v[72:73], v[202:203], v[12:13]
	v_pk_fma_f32 v[12:13], v[32:33], s[24:25], v[14:15] op_sel:[0,0,1] op_sel_hi:[1,0,0] neg_lo:[0,0,1] neg_hi:[0,0,1]
	v_pk_fma_f32 v[14:15], v[32:33], s[24:25], v[14:15] op_sel:[0,0,1] op_sel_hi:[1,0,0]
	v_mov_b32_e32 v16, v12
	v_mov_b32_e32 v17, v15
	v_pk_mul_f32 v[18:19], v[42:43], s[52:53] op_sel_hi:[1,0]
	v_pk_add_f32 v[20:21], v[16:17], v[0:1]
	v_pk_fma_f32 v[16:17], v[34:35], s[38:39], v[18:19] op_sel:[0,0,1] op_sel_hi:[1,0,0] neg_lo:[0,0,1] neg_hi:[0,0,1]
	v_pk_fma_f32 v[18:19], v[34:35], s[38:39], v[18:19] op_sel:[0,0,1] op_sel_hi:[1,0,0]
	v_mov_b32_e32 v22, v16
	v_mov_b32_e32 v23, v19
	v_pk_add_f32 v[24:25], v[22:23], v[20:21]
	v_pk_mul_f32 v[22:23], v[46:47], s[46:47] op_sel_hi:[1,0]
	v_mov_b32_e32 v10, v115
	v_pk_fma_f32 v[20:21], v[44:45], s[8:9], v[22:23] op_sel:[0,0,1] op_sel_hi:[1,0,0] neg_lo:[0,0,1] neg_hi:[0,0,1]
	v_pk_fma_f32 v[22:23], v[44:45], s[8:9], v[22:23] op_sel:[0,0,1] op_sel_hi:[1,0,0]
	v_mov_b32_e32 v11, v114
	v_mov_b32_e32 v26, v20
	;; [unrolled: 1-line block ×3, first 2 shown]
	v_pk_add_f32 v[28:29], v[26:27], v[24:25]
	v_pk_mul_f32 v[26:27], v[10:11], s[48:49] op_sel_hi:[1,0]
	v_mov_b32_e32 v8, v125
	v_pk_fma_f32 v[24:25], v[48:49], s[16:17], v[26:27] op_sel_hi:[1,0,1] neg_lo:[0,0,1] neg_hi:[0,0,1]
	v_pk_fma_f32 v[26:27], v[48:49], s[16:17], v[26:27] op_sel_hi:[1,0,1]
	v_mov_b32_e32 v9, v124
	v_mov_b32_e32 v30, v24
	;; [unrolled: 1-line block ×3, first 2 shown]
	v_pk_add_f32 v[60:61], v[30:31], v[28:29]
	v_pk_mul_f32 v[30:31], v[8:9], s[34:35] op_sel_hi:[1,0]
	v_mov_b32_e32 v6, v139
	v_pk_fma_f32 v[28:29], v[52:53], s[30:31], v[30:31] op_sel_hi:[1,0,1] neg_lo:[0,0,1] neg_hi:[0,0,1]
	v_pk_fma_f32 v[30:31], v[52:53], s[30:31], v[30:31] op_sel_hi:[1,0,1]
	v_mov_b32_e32 v7, v138
	v_mov_b32_e32 v62, v28
	;; [unrolled: 1-line block ×3, first 2 shown]
	s_mov_b32 s48, 0x3f7ee86f
	v_pk_add_f32 v[64:65], v[62:63], v[60:61]
	v_pk_mul_f32 v[62:63], v[6:7], s[48:49] op_sel_hi:[1,0]
	v_mov_b32_e32 v4, v145
	v_pk_fma_f32 v[60:61], v[54:55], s[0:1], v[62:63] op_sel_hi:[1,0,1] neg_lo:[0,0,1] neg_hi:[0,0,1]
	v_pk_fma_f32 v[62:63], v[54:55], s[0:1], v[62:63] op_sel_hi:[1,0,1]
	v_mov_b32_e32 v5, v144
	v_mov_b32_e32 v66, v60
	;; [unrolled: 1-line block ×3, first 2 shown]
	v_pk_add_f32 v[68:69], v[66:67], v[64:65]
	v_pk_mul_f32 v[66:67], v[4:5], s[18:19] op_sel_hi:[1,0]
	v_mov_b32_e32 v2, v159
	v_pk_fma_f32 v[64:65], v[56:57], s[10:11], v[66:67] op_sel_hi:[1,0,1] neg_lo:[0,0,1] neg_hi:[0,0,1]
	v_pk_fma_f32 v[66:67], v[56:57], s[10:11], v[66:67] op_sel_hi:[1,0,1]
	v_mov_b32_e32 v3, v158
	v_mov_b32_e32 v70, v64
	;; [unrolled: 1-line block ×3, first 2 shown]
	v_pk_add_f32 v[74:75], v[70:71], v[68:69]
	v_pk_mul_f32 v[70:71], v[2:3], s[22:23] op_sel_hi:[1,0]
	v_pk_mul_f32 v[78:79], v[42:43], s[50:51] op_sel_hi:[1,0]
	v_pk_fma_f32 v[68:69], v[58:59], s[20:21], v[70:71] op_sel_hi:[1,0,1] neg_lo:[0,0,1] neg_hi:[0,0,1]
	v_pk_fma_f32 v[70:71], v[58:59], s[20:21], v[70:71] op_sel_hi:[1,0,1]
	v_mov_b32_e32 v76, v68
	v_mov_b32_e32 v77, v71
	v_pk_add_f32 v[74:75], v[76:77], v[74:75]
	ds_write2_b64 v81, v[72:73], v[74:75] offset0:4 offset1:5
	v_pk_mul_f32 v[72:73], v[40:41], s[22:23] op_sel_hi:[1,0]
	v_pk_fma_f32 v[88:89], v[34:35], s[24:25], v[78:79] op_sel:[0,0,1] op_sel_hi:[1,0,0] neg_lo:[0,0,1] neg_hi:[0,0,1]
	v_pk_fma_f32 v[74:75], v[32:33], s[20:21], v[72:73] op_sel:[0,0,1] op_sel_hi:[1,0,0] neg_lo:[0,0,1] neg_hi:[0,0,1]
	v_pk_fma_f32 v[72:73], v[32:33], s[20:21], v[72:73] op_sel:[0,0,1] op_sel_hi:[1,0,0]
	v_mov_b32_e32 v76, v74
	v_mov_b32_e32 v77, v73
	v_pk_fma_f32 v[78:79], v[34:35], s[24:25], v[78:79] op_sel:[0,0,1] op_sel_hi:[1,0,0]
	v_pk_add_f32 v[76:77], v[76:77], v[0:1]
	v_mov_b32_e32 v90, v88
	v_mov_b32_e32 v91, v79
	v_pk_add_f32 v[76:77], v[90:91], v[76:77]
	v_pk_mul_f32 v[90:91], v[46:47], s[18:19] op_sel_hi:[1,0]
	v_pk_mul_f32 v[120:121], v[42:43], s[40:41] op_sel_hi:[1,0]
	v_pk_fma_f32 v[92:93], v[44:45], s[10:11], v[90:91] op_sel:[0,0,1] op_sel_hi:[1,0,0] neg_lo:[0,0,1] neg_hi:[0,0,1]
	v_pk_fma_f32 v[90:91], v[44:45], s[10:11], v[90:91] op_sel:[0,0,1] op_sel_hi:[1,0,0]
	v_mov_b32_e32 v94, v92
	v_mov_b32_e32 v95, v91
	v_pk_add_f32 v[76:77], v[94:95], v[76:77]
	v_pk_mul_f32 v[94:95], v[10:11], s[42:43] op_sel_hi:[1,0]
	v_pk_fma_f32 v[122:123], v[34:35], s[16:17], v[120:121] op_sel:[0,0,1] op_sel_hi:[1,0,0] neg_lo:[0,0,1] neg_hi:[0,0,1]
	v_pk_fma_f32 v[96:97], v[48:49], s[38:39], v[94:95] op_sel_hi:[1,0,1] neg_lo:[0,0,1] neg_hi:[0,0,1]
	v_pk_fma_f32 v[94:95], v[48:49], s[38:39], v[94:95] op_sel_hi:[1,0,1]
	v_mov_b32_e32 v98, v96
	v_mov_b32_e32 v99, v95
	v_pk_add_f32 v[76:77], v[98:99], v[76:77]
	v_pk_mul_f32 v[98:99], v[8:9], s[48:49] op_sel_hi:[1,0]
	v_pk_fma_f32 v[120:121], v[34:35], s[16:17], v[120:121] op_sel:[0,0,1] op_sel_hi:[1,0,0]
	v_pk_fma_f32 v[100:101], v[52:53], s[0:1], v[98:99] op_sel_hi:[1,0,1] neg_lo:[0,0,1] neg_hi:[0,0,1]
	v_pk_fma_f32 v[98:99], v[52:53], s[0:1], v[98:99] op_sel_hi:[1,0,1]
	v_mov_b32_e32 v102, v100
	v_mov_b32_e32 v103, v99
	v_pk_add_f32 v[76:77], v[102:103], v[76:77]
	v_pk_mul_f32 v[102:103], v[6:7], s[36:37] op_sel_hi:[1,0]
	v_mov_b32_e32 v124, v122
	v_pk_fma_f32 v[104:105], v[54:55], s[8:9], v[102:103] op_sel_hi:[1,0,1] neg_lo:[0,0,1] neg_hi:[0,0,1]
	v_pk_fma_f32 v[102:103], v[54:55], s[8:9], v[102:103] op_sel_hi:[1,0,1]
	v_mov_b32_e32 v106, v104
	v_mov_b32_e32 v107, v103
	v_pk_add_f32 v[76:77], v[106:107], v[76:77]
	v_pk_mul_f32 v[106:107], v[4:5], s[34:35] op_sel_hi:[1,0]
	v_mov_b32_e32 v125, v121
	v_pk_fma_f32 v[108:109], v[56:57], s[30:31], v[106:107] op_sel_hi:[1,0,1] neg_lo:[0,0,1] neg_hi:[0,0,1]
	v_pk_fma_f32 v[106:107], v[56:57], s[30:31], v[106:107] op_sel_hi:[1,0,1]
	v_mov_b32_e32 v110, v108
	v_mov_b32_e32 v111, v107
	v_pk_add_f32 v[76:77], v[110:111], v[76:77]
	v_pk_mul_f32 v[110:111], v[2:3], s[40:41] op_sel_hi:[1,0]
	v_pk_mul_f32 v[42:43], v[42:43], s[54:55] op_sel_hi:[1,0]
	v_pk_fma_f32 v[112:113], v[58:59], s[16:17], v[110:111] op_sel_hi:[1,0,1] neg_lo:[0,0,1] neg_hi:[0,0,1]
	v_pk_fma_f32 v[110:111], v[58:59], s[16:17], v[110:111] op_sel_hi:[1,0,1]
	v_mov_b32_e32 v114, v112
	v_mov_b32_e32 v115, v111
	v_pk_add_f32 v[76:77], v[114:115], v[76:77]
	v_pk_mul_f32 v[114:115], v[40:41], s[42:43] op_sel_hi:[1,0]
	v_pk_mul_f32 v[40:41], v[40:41], s[34:35] op_sel_hi:[1,0]
	v_pk_fma_f32 v[116:117], v[32:33], s[38:39], v[114:115] op_sel:[0,0,1] op_sel_hi:[1,0,0] neg_lo:[0,0,1] neg_hi:[0,0,1]
	v_pk_fma_f32 v[114:115], v[32:33], s[38:39], v[114:115] op_sel:[0,0,1] op_sel_hi:[1,0,0]
	v_mov_b32_e32 v118, v116
	v_mov_b32_e32 v119, v115
	v_pk_add_f32 v[118:119], v[118:119], v[0:1]
	v_mov_b32_e32 v115, v117
	v_pk_add_f32 v[118:119], v[124:125], v[118:119]
	v_pk_mul_f32 v[124:125], v[46:47], s[28:29] op_sel_hi:[1,0]
	v_mov_b32_e32 v73, v75
	v_pk_fma_f32 v[126:127], v[44:45], s[0:1], v[124:125] op_sel:[0,0,1] op_sel_hi:[1,0,0] neg_lo:[0,0,1] neg_hi:[0,0,1]
	v_pk_fma_f32 v[124:125], v[44:45], s[0:1], v[124:125] op_sel:[0,0,1] op_sel_hi:[1,0,0]
	v_mov_b32_e32 v128, v126
	v_mov_b32_e32 v129, v125
	v_pk_add_f32 v[118:119], v[128:129], v[118:119]
	v_pk_mul_f32 v[128:129], v[10:11], s[56:57] op_sel_hi:[1,0]
	v_pk_mul_f32 v[10:11], v[10:11], s[46:47] op_sel_hi:[1,0]
	v_pk_fma_f32 v[130:131], v[48:49], s[20:21], v[128:129] op_sel_hi:[1,0,1] neg_lo:[0,0,1] neg_hi:[0,0,1]
	v_pk_fma_f32 v[128:129], v[48:49], s[20:21], v[128:129] op_sel_hi:[1,0,1]
	v_mov_b32_e32 v132, v130
	v_mov_b32_e32 v133, v129
	v_pk_add_f32 v[118:119], v[132:133], v[118:119]
	v_pk_mul_f32 v[132:133], v[8:9], s[18:19] op_sel_hi:[1,0]
	v_pk_mul_f32 v[8:9], v[8:9], s[22:23] op_sel_hi:[1,0]
	v_pk_fma_f32 v[134:135], v[52:53], s[10:11], v[132:133] op_sel_hi:[1,0,1] neg_lo:[0,0,1] neg_hi:[0,0,1]
	v_pk_fma_f32 v[132:133], v[52:53], s[10:11], v[132:133] op_sel_hi:[1,0,1]
	v_mov_b32_e32 v136, v134
	v_mov_b32_e32 v137, v133
	v_pk_add_f32 v[118:119], v[136:137], v[118:119]
	v_pk_mul_f32 v[136:137], v[6:7], s[34:35] op_sel_hi:[1,0]
	v_pk_mul_f32 v[6:7], v[6:7], s[40:41] op_sel_hi:[1,0]
	v_pk_fma_f32 v[138:139], v[54:55], s[30:31], v[136:137] op_sel_hi:[1,0,1] neg_lo:[0,0,1] neg_hi:[0,0,1]
	v_pk_fma_f32 v[136:137], v[54:55], s[30:31], v[136:137] op_sel_hi:[1,0,1]
	v_mov_b32_e32 v142, v138
	v_mov_b32_e32 v143, v137
	v_pk_add_f32 v[118:119], v[142:143], v[118:119]
	v_pk_mul_f32 v[142:143], v[4:5], s[46:47] op_sel_hi:[1,0]
	v_pk_mul_f32 v[4:5], v[4:5], s[26:27] op_sel_hi:[1,0]
	v_pk_fma_f32 v[144:145], v[56:57], s[8:9], v[142:143] op_sel_hi:[1,0,1] neg_lo:[0,0,1] neg_hi:[0,0,1]
	v_pk_fma_f32 v[142:143], v[56:57], s[8:9], v[142:143] op_sel_hi:[1,0,1]
	v_mov_b32_e32 v146, v144
	v_mov_b32_e32 v147, v143
	v_pk_add_f32 v[118:119], v[146:147], v[118:119]
	v_pk_mul_f32 v[146:147], v[2:3], s[26:27] op_sel_hi:[1,0]
	v_pk_mul_f32 v[2:3], v[2:3], s[48:49] op_sel_hi:[1,0]
	v_pk_fma_f32 v[148:149], v[58:59], s[24:25], v[146:147] op_sel_hi:[1,0,1] neg_lo:[0,0,1] neg_hi:[0,0,1]
	v_pk_fma_f32 v[146:147], v[58:59], s[24:25], v[146:147] op_sel_hi:[1,0,1]
	v_mov_b32_e32 v150, v148
	v_mov_b32_e32 v151, v147
	v_pk_add_f32 v[118:119], v[150:151], v[118:119]
	ds_write2_b64 v81, v[76:77], v[118:119] offset0:6 offset1:7
	v_pk_fma_f32 v[76:77], v[32:33], s[30:31], v[40:41] op_sel:[0,0,1] op_sel_hi:[1,0,0] neg_lo:[0,0,1] neg_hi:[0,0,1]
	v_pk_fma_f32 v[32:33], v[32:33], s[30:31], v[40:41] op_sel:[0,0,1] op_sel_hi:[1,0,0]
	v_mov_b32_e32 v40, v76
	v_mov_b32_e32 v41, v33
	v_pk_fma_f32 v[118:119], v[34:35], s[10:11], v[42:43] op_sel:[0,0,1] op_sel_hi:[1,0,0] neg_lo:[0,0,1] neg_hi:[0,0,1]
	v_pk_fma_f32 v[34:35], v[34:35], s[10:11], v[42:43] op_sel:[0,0,1] op_sel_hi:[1,0,0]
	v_pk_add_f32 v[40:41], v[40:41], v[0:1]
	v_mov_b32_e32 v42, v118
	v_mov_b32_e32 v43, v35
	v_pk_add_f32 v[40:41], v[42:43], v[40:41]
	v_pk_mul_f32 v[42:43], v[46:47], s[42:43] op_sel_hi:[1,0]
	v_mov_b32_e32 v33, v77
	v_pk_fma_f32 v[46:47], v[44:45], s[38:39], v[42:43] op_sel:[0,0,1] op_sel_hi:[1,0,0] neg_lo:[0,0,1] neg_hi:[0,0,1]
	v_pk_fma_f32 v[42:43], v[44:45], s[38:39], v[42:43] op_sel:[0,0,1] op_sel_hi:[1,0,0]
	v_mov_b32_e32 v44, v46
	v_mov_b32_e32 v45, v43
	v_pk_add_f32 v[40:41], v[44:45], v[40:41]
	v_pk_fma_f32 v[44:45], v[48:49], s[8:9], v[10:11] op_sel_hi:[1,0,1] neg_lo:[0,0,1] neg_hi:[0,0,1]
	v_pk_fma_f32 v[10:11], v[48:49], s[8:9], v[10:11] op_sel_hi:[1,0,1]
	v_mov_b32_e32 v48, v44
	v_mov_b32_e32 v49, v11
	v_pk_add_f32 v[40:41], v[48:49], v[40:41]
	v_pk_fma_f32 v[48:49], v[52:53], s[20:21], v[8:9] op_sel_hi:[1,0,1] neg_lo:[0,0,1] neg_hi:[0,0,1]
	v_pk_fma_f32 v[8:9], v[52:53], s[20:21], v[8:9] op_sel_hi:[1,0,1]
	v_mov_b32_e32 v52, v48
	v_mov_b32_e32 v53, v9
	v_pk_add_f32 v[32:33], v[32:33], v[0:1]
	v_mov_b32_e32 v35, v119
	v_pk_add_f32 v[40:41], v[52:53], v[40:41]
	v_pk_fma_f32 v[52:53], v[54:55], s[16:17], v[6:7] op_sel_hi:[1,0,1] neg_lo:[0,0,1] neg_hi:[0,0,1]
	v_pk_fma_f32 v[6:7], v[54:55], s[16:17], v[6:7] op_sel_hi:[1,0,1]
	v_pk_add_f32 v[32:33], v[34:35], v[32:33]
	v_mov_b32_e32 v43, v47
	v_mov_b32_e32 v54, v52
	v_mov_b32_e32 v55, v7
	v_pk_add_f32 v[32:33], v[42:43], v[32:33]
	v_mov_b32_e32 v11, v45
	v_pk_add_f32 v[40:41], v[54:55], v[40:41]
	v_pk_fma_f32 v[54:55], v[56:57], s[24:25], v[4:5] op_sel_hi:[1,0,1] neg_lo:[0,0,1] neg_hi:[0,0,1]
	v_pk_fma_f32 v[4:5], v[56:57], s[24:25], v[4:5] op_sel_hi:[1,0,1]
	v_pk_add_f32 v[10:11], v[10:11], v[32:33]
	v_mov_b32_e32 v9, v49
	;; [unrolled: 9-line block ×3, first 2 shown]
	v_mov_b32_e32 v58, v56
	v_mov_b32_e32 v59, v3
	v_pk_add_f32 v[4:5], v[4:5], v[6:7]
	v_mov_b32_e32 v3, v57
	v_pk_add_f32 v[40:41], v[58:59], v[40:41]
	v_pk_add_f32 v[2:3], v[2:3], v[4:5]
	v_mov_b32_e32 v15, v13
	ds_write2_b64 v81, v[40:41], v[2:3] offset0:8 offset1:9
	v_pk_add_f32 v[2:3], v[114:115], v[0:1]
	v_mov_b32_e32 v121, v123
	v_pk_add_f32 v[4:5], v[72:73], v[0:1]
	v_mov_b32_e32 v79, v89
	;; [unrolled: 2-line block ×21, first 2 shown]
	v_pk_add_f32 v[2:3], v[146:147], v[2:3]
	v_pk_add_f32 v[4:5], v[110:111], v[4:5]
	;; [unrolled: 1-line block ×3, first 2 shown]
	ds_write2_b64 v81, v[2:3], v[4:5] offset0:10 offset1:11
	ds_write2_b64 v81, v[0:1], v[50:51] offset0:12 offset1:13
	;; [unrolled: 1-line block ×3, first 2 shown]
	ds_write_b64 v81, v[84:85] offset:128
.LBB0_7:
	s_or_b64 exec, exec, s[44:45]
	s_movk_i32 s0, 0xf1
	v_mul_lo_u16_sdwa v0, v234, s0 dst_sel:DWORD dst_unused:UNUSED_PAD src0_sel:BYTE_0 src1_sel:DWORD
	v_lshrrev_b16_e32 v0, 12, v0
	v_mul_lo_u16_e32 v1, 17, v0
	v_sub_u16_e32 v1, v234, v1
	v_and_b32_e32 v1, 0xff, v1
	v_mul_u32_u24_e32 v2, 12, v1
	v_lshlrev_b32_e32 v2, 3, v2
	s_load_dwordx4 s[8:11], s[2:3], 0x0
	s_waitcnt lgkmcnt(0)
	; wave barrier
	s_waitcnt lgkmcnt(0)
	global_load_dwordx4 v[16:19], v2, s[6:7] offset:16
	global_load_dwordx4 v[238:241], v2, s[6:7]
	global_load_dwordx4 v[8:11], v2, s[6:7] offset:32
	global_load_dwordx4 v[4:7], v2, s[6:7] offset:48
	global_load_dwordx4 v[20:23], v2, s[6:7] offset:64
	global_load_dwordx4 v[12:15], v2, s[6:7] offset:80
	ds_read2_b64 v[28:31], v80 offset0:102 offset1:153
	ds_read2_b64 v[32:35], v80 offset0:204 offset1:255
	ds_read2_b64 v[24:27], v80 offset1:51
	v_add_u32_e32 v81, 0x800, v80
	v_add_u32_e32 v2, 0xc00, v80
	ds_read_b64 v[48:49], v80 offset:4896
	ds_read2_b64 v[40:43], v81 offset0:50 offset1:101
	ds_read2_b64 v[44:47], v81 offset0:152 offset1:203
	;; [unrolled: 1-line block ×3, first 2 shown]
	v_mul_u32_u24_e32 v0, 0xdd, v0
	s_waitcnt lgkmcnt(4)
	v_mov_b32_e32 v56, v27
	v_add_lshl_u32 v200, v0, v1, 3
	v_mov_b32_e32 v58, v29
	s_mov_b32 s18, 0xbf29c268
	s_mov_b32 s24, 0xbf3f9e67
	;; [unrolled: 1-line block ×17, first 2 shown]
	s_waitcnt lgkmcnt(0)
	; wave barrier
	s_waitcnt lgkmcnt(0)
	s_mov_b32 s30, 0x3f7e222b
	s_mov_b32 s29, s24
	;; [unrolled: 1-line block ×9, first 2 shown]
	v_add_u32_e32 v89, 0x1000, v80
	s_waitcnt vmcnt(5)
	v_mov_b32_e32 v202, v19
	s_waitcnt vmcnt(4)
	v_pk_mul_f32 v[60:61], v[26:27], v[238:239]
	v_pk_mul_f32 v[62:63], v[28:29], v[240:241]
	v_mov_b32_e32 v60, v239
	v_mov_b32_e32 v62, v241
	v_mul_f32_e32 v0, v31, v17
	v_mul_f32_e32 v65, v30, v17
	s_waitcnt vmcnt(3)
	v_pk_mul_f32 v[66:67], v[34:35], v[8:9] op_sel:[0,1]
	v_mov_b32_e32 v68, v11
	s_waitcnt vmcnt(2)
	v_pk_mul_f32 v[70:71], v[42:43], v[4:5] op_sel:[0,1]
	v_mov_b32_e32 v72, v7
	;; [unrolled: 3-line block ×4, first 2 shown]
	v_mov_b32_e32 v92, v61
	v_pk_mul_f32 v[60:61], v[26:27], v[60:61]
	v_mov_b32_e32 v94, v63
	v_pk_mul_f32 v[62:63], v[28:29], v[62:63]
	v_fma_f32 v64, v30, v16, -v0
	v_fmac_f32_e32 v65, v31, v16
	v_pk_mul_f32 v[30:31], v[32:33], v[202:203] op_sel_hi:[1,0]
	v_pk_fma_f32 v[96:97], v[34:35], v[8:9], v[66:67] op_sel:[0,0,1] op_sel_hi:[1,1,0] neg_lo:[0,0,1] neg_hi:[0,0,1]
	v_pk_fma_f32 v[34:35], v[34:35], v[8:9], v[66:67] op_sel:[0,0,1] op_sel_hi:[1,0,0]
	v_pk_mul_f32 v[66:67], v[40:41], v[68:69] op_sel_hi:[1,0]
	v_pk_fma_f32 v[98:99], v[42:43], v[4:5], v[70:71] op_sel:[0,0,1] op_sel_hi:[1,1,0] neg_lo:[0,0,1] neg_hi:[0,0,1]
	v_pk_fma_f32 v[42:43], v[42:43], v[4:5], v[70:71] op_sel:[0,0,1] op_sel_hi:[1,0,0]
	v_pk_mul_f32 v[68:69], v[44:45], v[72:73] op_sel_hi:[1,0]
	v_pk_fma_f32 v[70:71], v[46:47], v[20:21], v[74:75] op_sel:[0,0,1] op_sel_hi:[1,1,0] neg_lo:[0,0,1] neg_hi:[0,0,1]
	v_pk_fma_f32 v[46:47], v[46:47], v[20:21], v[74:75] op_sel:[0,0,1] op_sel_hi:[1,0,0]
	v_pk_mul_f32 v[72:73], v[52:53], v[76:77] op_sel_hi:[1,0]
	v_pk_fma_f32 v[74:75], v[54:55], v[12:13], v[78:79] op_sel:[0,0,1] op_sel_hi:[1,0,0] neg_lo:[0,0,1] neg_hi:[0,0,1]
	v_pk_fma_f32 v[76:77], v[54:55], v[12:13], v[78:79] op_sel:[0,0,1] op_sel_hi:[1,0,0]
	v_pk_mul_f32 v[54:55], v[48:49], v[90:91] op_sel_hi:[1,0]
	v_pk_fma_f32 v[56:57], v[56:57], v[238:239], v[60:61]
	v_pk_fma_f32 v[78:79], v[26:27], v[238:239], v[92:93] neg_lo:[0,0,1] neg_hi:[0,0,1]
	v_pk_fma_f32 v[60:61], v[28:29], v[240:241], v[94:95] neg_lo:[0,0,1] neg_hi:[0,0,1]
	v_pk_fma_f32 v[58:59], v[58:59], v[240:241], v[62:63]
	v_pk_fma_f32 v[62:63], v[32:33], v[18:19], v[30:31] op_sel:[0,0,1] op_sel_hi:[1,1,0] neg_lo:[0,0,1] neg_hi:[0,0,1]
	v_pk_fma_f32 v[26:27], v[32:33], v[18:19], v[30:31] op_sel:[0,0,1] op_sel_hi:[1,0,0]
	v_pk_fma_f32 v[32:33], v[40:41], v[10:11], v[66:67] op_sel:[0,0,1] op_sel_hi:[1,1,0] neg_lo:[0,0,1] neg_hi:[0,0,1]
	v_pk_fma_f32 v[28:29], v[40:41], v[10:11], v[66:67] op_sel:[0,0,1] op_sel_hi:[1,0,0]
	v_pk_fma_f32 v[40:41], v[48:49], v[14:15], v[54:55] op_sel:[0,0,1] op_sel_hi:[1,0,0] neg_lo:[0,0,1] neg_hi:[0,0,1]
	v_mov_b32_e32 v19, v56
	v_mov_b32_e32 v99, v43
	;; [unrolled: 1-line block ×3, first 2 shown]
	v_pk_fma_f32 v[42:43], v[48:49], v[14:15], v[54:55] op_sel:[0,0,1] op_sel_hi:[1,0,0]
	v_pk_add_f32 v[46:47], v[78:79], v[40:41]
	v_pk_add_f32 v[94:95], v[78:79], v[40:41] neg_lo:[0,1] neg_hi:[0,1]
	v_pk_add_f32 v[78:79], v[24:25], v[78:79]
	v_pk_add_f32 v[110:111], v[24:25], v[18:19]
	v_mov_b32_e32 v63, v27
	v_mov_b32_e32 v92, v60
	;; [unrolled: 1-line block ×3, first 2 shown]
	v_pk_add_f32 v[26:27], v[18:19], v[42:43]
	v_mov_b32_e32 v79, v111
	v_mov_b32_e32 v97, v35
	v_pk_fma_f32 v[66:67], v[44:45], v[6:7], v[68:69] op_sel:[0,0,1] op_sel_hi:[1,1,0] neg_lo:[0,0,1] neg_hi:[0,0,1]
	v_pk_fma_f32 v[30:31], v[44:45], v[6:7], v[68:69] op_sel:[0,0,1] op_sel_hi:[1,0,0]
	v_pk_fma_f32 v[90:91], v[52:53], v[22:23], v[72:73] op_sel:[0,0,1] op_sel_hi:[1,0,0] neg_lo:[0,0,1] neg_hi:[0,0,1]
	v_pk_fma_f32 v[34:35], v[52:53], v[22:23], v[72:73] op_sel:[0,0,1] op_sel_hi:[1,0,0]
	v_mov_b32_e32 v26, v43
	v_pk_add_f32 v[78:79], v[78:79], v[92:93]
	v_mov_b32_e32 v67, v31
	v_pk_add_f32 v[54:55], v[56:57], v[26:27] neg_lo:[0,1] neg_hi:[0,1]
	v_mov_b32_e32 v26, v77
	v_add_f32_e32 v44, v64, v90
	v_add_f32_e32 v31, v65, v35
	v_sub_f32_e32 v45, v64, v90
	v_sub_f32_e32 v30, v65, v35
	v_pk_add_f32 v[64:65], v[78:79], v[64:65]
	v_mov_b32_e32 v33, v29
	v_mov_b32_e32 v91, v35
	;; [unrolled: 1-line block ×4, first 2 shown]
	v_pk_add_f32 v[56:57], v[58:59], v[26:27] neg_lo:[0,1] neg_hi:[0,1]
	v_pk_add_f32 v[42:43], v[62:63], v[70:71]
	v_pk_add_f32 v[58:59], v[62:63], v[70:71] neg_lo:[0,1] neg_hi:[0,1]
	v_pk_add_f32 v[34:35], v[96:97], v[66:67] neg_lo:[0,1] neg_hi:[0,1]
	v_pk_add_f32 v[62:63], v[64:65], v[62:63]
	v_mov_b32_e32 v48, v40
	v_pk_add_f32 v[40:41], v[96:97], v[66:67]
	v_pk_mul_f32 v[68:69], v[34:35], s[18:19] op_sel:[1,0] op_sel_hi:[0,0]
	v_pk_add_f32 v[62:63], v[62:63], v[96:97]
	v_mov_b32_e32 v72, v74
	v_mov_b32_e32 v73, v77
	v_pk_add_f32 v[52:53], v[60:61], v[74:75]
	v_pk_add_f32 v[28:29], v[28:29], v[76:77]
	v_pk_add_f32 v[60:61], v[60:61], v[74:75] neg_lo:[0,1] neg_hi:[0,1]
	v_pk_fma_f32 v[76:77], v[40:41], s[24:25], v[68:69] op_sel_hi:[1,0,1]
	v_pk_fma_f32 v[100:101], v[40:41], s[24:25], v[68:69] op_sel_hi:[1,0,1] neg_lo:[0,0,1] neg_hi:[0,0,1]
	v_pk_add_f32 v[68:69], v[32:33], v[98:99]
	v_pk_add_f32 v[74:75], v[32:33], v[98:99] neg_lo:[0,1] neg_hi:[0,1]
	v_pk_add_f32 v[32:33], v[62:63], v[32:33]
	v_mov_b32_e32 v47, v94
	v_pk_add_f32 v[32:33], v[32:33], v[98:99]
	v_mov_b32_e32 v26, v54
	;; [unrolled: 2-line block ×4, first 2 shown]
	v_pk_add_f32 v[32:33], v[32:33], v[90:91]
	v_pk_mul_f32 v[104:105], v[74:75], s[0:1] op_sel:[1,0] op_sel_hi:[0,0]
	v_pk_add_f32 v[32:33], v[32:33], v[72:73]
	v_mov_b32_e32 v102, v76
	v_pk_add_f32 v[62:63], v[32:33], v[48:49]
	v_pk_mul_f32 v[32:33], v[46:47], s[16:17]
	s_mov_b32 s16, 0xbf52af12
	s_mov_b32 s17, 0x3f116cb1
	;; [unrolled: 1-line block ×4, first 2 shown]
	v_pk_fma_f32 v[48:49], v[54:55], s[2:3], v[32:33] neg_lo:[1,0,0] neg_hi:[1,0,0]
	v_pk_fma_f32 v[64:65], v[26:27], s[2:3], v[32:33]
	v_pk_mul_f32 v[60:61], v[52:53], s[38:39]
	v_pk_fma_f32 v[32:33], v[26:27], s[2:3], v[32:33] neg_lo:[0,0,1] neg_hi:[0,0,1]
	v_mov_b32_e32 v49, v65
	v_pk_fma_f32 v[66:67], v[56:57], s[16:17], v[60:61] neg_lo:[1,0,0] neg_hi:[1,0,0]
	v_pk_fma_f32 v[70:71], v[28:29], s[16:17], v[60:61]
	v_mov_b32_e32 v65, v33
	v_pk_fma_f32 v[60:61], v[28:29], s[16:17], v[60:61] neg_lo:[0,0,1] neg_hi:[0,0,1]
	v_mov_b32_e32 v67, v71
	v_pk_add_f32 v[32:33], v[24:25], v[64:65]
	v_mov_b32_e32 v71, v61
	v_pk_add_f32 v[48:49], v[24:25], v[48:49]
	v_pk_add_f32 v[60:61], v[70:71], v[32:33]
	v_pk_mul_f32 v[32:33], v[44:45], s[40:41]
	v_pk_add_f32 v[48:49], v[66:67], v[48:49]
	v_pk_fma_f32 v[64:65], v[30:31], s[22:23], v[32:33] neg_lo:[1,0,0] neg_hi:[1,0,0]
	v_pk_fma_f32 v[66:67], v[30:31], s[22:23], v[32:33]
	v_mov_b32_e32 v103, v101
	v_mov_b32_e32 v65, v67
	v_pk_add_f32 v[48:49], v[64:65], v[48:49]
	v_pk_fma_f32 v[64:65], v[30:31], s[22:23], v[32:33] neg_lo:[0,0,1] neg_hi:[0,0,1]
	v_mov_b32_e32 v33, v43
	v_mov_b32_e32 v43, v58
	;; [unrolled: 1-line block ×3, first 2 shown]
	v_pk_mul_f32 v[58:59], v[42:43], s[34:35]
	v_mov_b32_e32 v67, v65
	v_pk_fma_f32 v[70:71], v[32:33], s[20:21], v[58:59] neg_lo:[1,0,0] neg_hi:[1,0,0]
	v_pk_fma_f32 v[72:73], v[32:33], s[20:21], v[58:59]
	v_pk_fma_f32 v[58:59], v[32:33], s[20:21], v[58:59] neg_lo:[0,0,1] neg_hi:[0,0,1]
	v_mov_b32_e32 v71, v73
	v_pk_add_f32 v[60:61], v[66:67], v[60:61]
	v_mov_b32_e32 v73, v59
	v_pk_fma_f32 v[106:107], v[68:69], s[26:27], v[104:105] op_sel_hi:[1,0,1]
	v_pk_fma_f32 v[104:105], v[68:69], s[26:27], v[104:105] op_sel_hi:[1,0,1] neg_lo:[0,0,1] neg_hi:[0,0,1]
	v_pk_add_f32 v[48:49], v[70:71], v[48:49]
	v_pk_add_f32 v[58:59], v[72:73], v[60:61]
	v_mov_b32_e32 v101, v77
	v_mov_b32_e32 v108, v106
	;; [unrolled: 1-line block ×3, first 2 shown]
	v_pk_add_f32 v[48:49], v[100:101], v[48:49]
	v_pk_add_f32 v[58:59], v[102:103], v[58:59]
	v_mov_b32_e32 v105, v107
	v_pk_mul_f32 v[64:65], v[46:47], s[38:39]
	v_pk_add_f32 v[60:61], v[104:105], v[48:49]
	v_pk_add_f32 v[48:49], v[108:109], v[58:59]
	v_pk_fma_f32 v[98:99], v[54:55], s[16:17], v[64:65] neg_lo:[1,0,0] neg_hi:[1,0,0]
	v_pk_fma_f32 v[58:59], v[26:27], s[16:17], v[64:65]
	v_pk_mul_f32 v[66:67], v[52:53], s[34:35]
	s_mov_b32 s27, s0
	ds_write2_b64 v200, v[62:63], v[60:61] offset1:17
	v_mov_b32_e32 v99, v59
	v_pk_fma_f32 v[100:101], v[56:57], s[20:21], v[66:67] neg_lo:[1,0,0] neg_hi:[1,0,0]
	v_pk_fma_f32 v[60:61], v[28:29], s[20:21], v[66:67]
	s_mov_b32 s1, s26
	v_pk_mul_f32 v[72:73], v[44:45], s[26:27]
	s_mov_b32 s25, s28
	v_mov_b32_e32 v101, v61
	v_pk_fma_f32 v[102:103], v[30:31], s[0:1], v[72:73] neg_lo:[1,0,0] neg_hi:[1,0,0]
	v_pk_fma_f32 v[62:63], v[30:31], s[0:1], v[72:73]
	v_pk_mul_f32 v[76:77], v[42:43], s[24:25]
	v_mov_b32_e32 v79, v41
	v_mov_b32_e32 v41, v34
	v_pk_add_f32 v[98:99], v[24:25], v[98:99]
	v_mov_b32_e32 v103, v63
	v_pk_fma_f32 v[104:105], v[32:33], s[28:29], v[76:77] neg_lo:[1,0,0] neg_hi:[1,0,0]
	v_pk_fma_f32 v[70:71], v[32:33], s[28:29], v[76:77]
	v_mov_b32_e32 v78, v35
	v_pk_mul_f32 v[92:93], v[40:41], s[46:47]
	s_mov_b32 s2, 0x3eedf032
	v_pk_add_f32 v[98:99], v[100:101], v[98:99]
	v_mov_b32_e32 v105, v71
	v_pk_fma_f32 v[106:107], v[34:35], s[30:31], v[92:93] op_sel:[1,0,0] op_sel_hi:[0,1,1] neg_lo:[1,0,0] neg_hi:[1,0,0]
	v_pk_fma_f32 v[90:91], v[78:79], s[30:31], v[92:93]
	v_pk_mul_f32 v[94:95], v[74:75], s[2:3] op_sel:[1,0] op_sel_hi:[0,0]
	v_pk_add_f32 v[98:99], v[102:103], v[98:99]
	v_mov_b32_e32 v107, v91
	v_pk_fma_f32 v[96:97], v[68:69], s[36:37], v[94:95] op_sel_hi:[1,0,1] neg_lo:[0,0,1] neg_hi:[0,0,1]
	v_pk_fma_f32 v[94:95], v[68:69], s[36:37], v[94:95] op_sel_hi:[1,0,1]
	v_pk_add_f32 v[98:99], v[104:105], v[98:99]
	v_mov_b32_e32 v108, v96
	v_mov_b32_e32 v109, v95
	v_pk_add_f32 v[98:99], v[106:107], v[98:99]
	v_pk_mul_f32 v[104:105], v[46:47], s[40:41]
	s_mov_b32 s36, 0x3f6f5d39
	v_pk_add_f32 v[122:123], v[108:109], v[98:99]
	v_pk_fma_f32 v[124:125], v[54:55], s[22:23], v[104:105] neg_lo:[1,0,0] neg_hi:[1,0,0]
	v_pk_fma_f32 v[98:99], v[26:27], s[22:23], v[104:105]
	v_pk_mul_f32 v[106:107], v[52:53], s[26:27]
	s_mov_b32 s43, s36
	v_mov_b32_e32 v125, v99
	v_pk_fma_f32 v[126:127], v[56:57], s[0:1], v[106:107] neg_lo:[1,0,0] neg_hi:[1,0,0]
	v_pk_fma_f32 v[100:101], v[28:29], s[0:1], v[106:107]
	s_mov_b32 s37, s21
	v_pk_mul_f32 v[110:111], v[44:45], s[42:43]
	s_mov_b32 s42, s3
	s_mov_b32 s43, s2
	v_mov_b32_e32 v127, v101
	v_pk_fma_f32 v[128:129], v[30:31], s[36:37], v[110:111] neg_lo:[1,0,0] neg_hi:[1,0,0]
	v_pk_fma_f32 v[102:103], v[30:31], s[36:37], v[110:111]
	v_pk_mul_f32 v[116:117], v[42:43], s[42:43]
	v_pk_add_f32 v[124:125], v[24:25], v[124:125]
	v_mov_b32_e32 v129, v103
	v_pk_fma_f32 v[130:131], v[32:33], s[2:3], v[116:117] neg_lo:[1,0,0] neg_hi:[1,0,0]
	v_pk_fma_f32 v[108:109], v[32:33], s[2:3], v[116:117]
	v_pk_mul_f32 v[118:119], v[40:41], s[38:39]
	v_pk_add_f32 v[124:125], v[126:127], v[124:125]
	v_mov_b32_e32 v131, v109
	v_pk_fma_f32 v[132:133], v[34:35], s[16:17], v[118:119] op_sel:[1,0,0] op_sel_hi:[0,1,1] neg_lo:[1,0,0] neg_hi:[1,0,0]
	v_pk_fma_f32 v[112:113], v[78:79], s[16:17], v[118:119]
	v_pk_mul_f32 v[114:115], v[74:75], s[18:19] op_sel:[1,0] op_sel_hi:[0,0]
	v_pk_add_f32 v[124:125], v[128:129], v[124:125]
	v_mov_b32_e32 v133, v113
	v_pk_fma_f32 v[120:121], v[68:69], s[24:25], v[114:115] op_sel_hi:[1,0,1] neg_lo:[0,0,1] neg_hi:[0,0,1]
	v_pk_fma_f32 v[114:115], v[68:69], s[24:25], v[114:115] op_sel_hi:[1,0,1]
	v_pk_add_f32 v[124:125], v[130:131], v[124:125]
	v_mov_b32_e32 v134, v120
	v_mov_b32_e32 v135, v115
	v_pk_add_f32 v[124:125], v[132:133], v[124:125]
	v_pk_mul_f32 v[128:129], v[52:53], s[24:25]
	v_pk_add_f32 v[124:125], v[134:135], v[124:125]
	ds_write2_b64 v200, v[122:123], v[124:125] offset0:34 offset1:51
	v_pk_mul_f32 v[122:123], v[46:47], s[34:35]
	v_pk_fma_f32 v[130:131], v[56:57], s[28:29], v[128:129] neg_lo:[1,0,0] neg_hi:[1,0,0]
	v_pk_fma_f32 v[124:125], v[54:55], s[20:21], v[122:123] neg_lo:[1,0,0] neg_hi:[1,0,0]
	v_pk_fma_f32 v[126:127], v[26:27], s[20:21], v[122:123]
	v_pk_fma_f32 v[132:133], v[28:29], s[28:29], v[128:129]
	v_mov_b32_e32 v125, v127
	v_pk_mul_f32 v[134:135], v[44:45], s[42:43]
	v_pk_mul_f32 v[142:143], v[42:43], s[40:41]
	s_mov_b32 s40, 0x3e750f2a
	v_mov_b32_e32 v131, v133
	v_pk_fma_f32 v[136:137], v[30:31], s[2:3], v[134:135] neg_lo:[1,0,0] neg_hi:[1,0,0]
	v_pk_fma_f32 v[138:139], v[30:31], s[2:3], v[134:135]
	s_mov_b32 s49, s40
	v_pk_add_f32 v[124:125], v[24:25], v[124:125]
	v_mov_b32_e32 v137, v139
	v_pk_fma_f32 v[144:145], v[32:33], s[22:23], v[142:143] neg_lo:[1,0,0] neg_hi:[1,0,0]
	v_pk_fma_f32 v[146:147], v[32:33], s[22:23], v[142:143]
	s_mov_b32 s41, s26
	v_pk_mul_f32 v[148:149], v[40:41], s[48:49]
	v_pk_add_f32 v[124:125], v[130:131], v[124:125]
	v_mov_b32_e32 v145, v147
	v_pk_fma_f32 v[150:151], v[34:35], s[40:41], v[148:149] op_sel:[1,0,0] op_sel_hi:[0,1,1] neg_lo:[1,0,0] neg_hi:[1,0,0]
	v_pk_fma_f32 v[152:153], v[78:79], s[40:41], v[148:149]
	s_mov_b32 s50, s17
	v_pk_mul_f32 v[154:155], v[74:75], s[44:45] op_sel:[1,0] op_sel_hi:[0,0]
	v_pk_add_f32 v[124:125], v[136:137], v[124:125]
	s_mov_b32 s25, s18
	v_mov_b32_e32 v151, v153
	v_pk_fma_f32 v[156:157], v[68:69], s[50:51], v[154:155] op_sel_hi:[1,0,1] neg_lo:[0,0,1] neg_hi:[0,0,1]
	v_pk_fma_f32 v[154:155], v[68:69], s[50:51], v[154:155] op_sel_hi:[1,0,1]
	v_pk_add_f32 v[124:125], v[144:145], v[124:125]
	s_mov_b32 s19, s24
	v_pk_mul_f32 v[130:131], v[46:47], s[24:25]
	v_mov_b32_e32 v158, v156
	v_mov_b32_e32 v159, v155
	v_pk_add_f32 v[124:125], v[150:151], v[124:125]
	v_pk_fma_f32 v[136:137], v[54:55], s[18:19], v[130:131] neg_lo:[1,0,0] neg_hi:[1,0,0]
	v_pk_fma_f32 v[144:145], v[26:27], s[18:19], v[130:131]
	v_pk_mul_f32 v[150:151], v[52:53], s[46:47]
	v_pk_add_f32 v[124:125], v[158:159], v[124:125]
	v_mov_b32_e32 v137, v145
	v_pk_fma_f32 v[158:159], v[56:57], s[30:31], v[150:151] neg_lo:[1,0,0] neg_hi:[1,0,0]
	v_pk_fma_f32 v[160:161], v[28:29], s[30:31], v[150:151]
	v_pk_mul_f32 v[162:163], v[44:45], s[38:39]
	v_mov_b32_e32 v159, v161
	v_pk_fma_f32 v[164:165], v[30:31], s[16:17], v[162:163] neg_lo:[1,0,0] neg_hi:[1,0,0]
	v_pk_fma_f32 v[166:167], v[30:31], s[16:17], v[162:163]
	v_pk_add_f32 v[136:137], v[24:25], v[136:137]
	v_mov_b32_e32 v165, v167
	v_pk_mul_f32 v[168:169], v[42:43], s[48:49]
	v_pk_add_f32 v[136:137], v[158:159], v[136:137]
	v_pk_fma_f32 v[158:159], v[32:33], s[40:41], v[168:169] neg_lo:[1,0,0] neg_hi:[1,0,0]
	v_pk_add_f32 v[136:137], v[164:165], v[136:137]
	v_pk_fma_f32 v[164:165], v[32:33], s[40:41], v[168:169]
	s_mov_b32 s38, s21
	v_mov_b32_e32 v159, v165
	v_pk_add_f32 v[136:137], v[158:159], v[136:137]
	v_pk_mul_f32 v[158:159], v[40:41], s[42:43]
	v_pk_mul_f32 v[46:47], v[46:47], s[26:27]
	v_pk_fma_f32 v[170:171], v[34:35], s[2:3], v[158:159] op_sel:[1,0,0] op_sel_hi:[0,1,1] neg_lo:[1,0,0] neg_hi:[1,0,0]
	v_pk_fma_f32 v[172:173], v[78:79], s[2:3], v[158:159]
	v_pk_fma_f32 v[54:55], v[54:55], s[0:1], v[46:47] neg_lo:[1,0,0] neg_hi:[1,0,0]
	v_mov_b32_e32 v171, v173
	v_pk_add_f32 v[136:137], v[170:171], v[136:137]
	v_pk_mul_f32 v[170:171], v[74:75], s[20:21] op_sel:[1,0] op_sel_hi:[0,0]
	v_pk_fma_f32 v[174:175], v[68:69], s[38:39], v[170:171] op_sel_hi:[1,0,1] neg_lo:[0,0,1] neg_hi:[0,0,1]
	v_pk_fma_f32 v[170:171], v[68:69], s[38:39], v[170:171] op_sel_hi:[1,0,1]
	v_mov_b32_e32 v176, v174
	v_mov_b32_e32 v177, v171
	v_pk_add_f32 v[136:137], v[176:177], v[136:137]
	s_mov_b32 s38, s23
	v_pk_mul_f32 v[74:75], v[74:75], s[30:31] op_sel:[1,0] op_sel_hi:[0,0]
	ds_write2_b64 v200, v[124:125], v[136:137] offset0:68 offset1:85
	v_pk_fma_f32 v[124:125], v[68:69], s[38:39], v[74:75] op_sel_hi:[1,0,1] neg_lo:[0,0,1] neg_hi:[0,0,1]
	v_pk_fma_f32 v[68:69], v[68:69], s[38:39], v[74:75] op_sel_hi:[1,0,1]
	v_pk_fma_f32 v[74:75], v[26:27], s[0:1], v[46:47]
	v_pk_mul_f32 v[52:53], v[52:53], s[42:43]
	v_mov_b32_e32 v55, v75
	v_pk_fma_f32 v[56:57], v[56:57], s[2:3], v[52:53] neg_lo:[1,0,0] neg_hi:[1,0,0]
	v_pk_fma_f32 v[136:137], v[28:29], s[2:3], v[52:53]
	v_pk_add_f32 v[54:55], v[24:25], v[54:55]
	v_mov_b32_e32 v57, v137
	v_pk_mul_f32 v[44:45], v[44:45], s[24:25]
	v_pk_add_f32 v[54:55], v[56:57], v[54:55]
	v_pk_fma_f32 v[56:57], v[30:31], s[18:19], v[44:45] neg_lo:[1,0,0] neg_hi:[1,0,0]
	v_pk_fma_f32 v[176:177], v[30:31], s[18:19], v[44:45]
	s_mov_b32 s24, s17
	s_mov_b32 s25, s44
	v_mov_b32_e32 v57, v177
	s_mov_b32 s45, s17
	v_pk_mul_f32 v[42:43], v[42:43], s[24:25]
	v_pk_add_f32 v[54:55], v[56:57], v[54:55]
	v_pk_fma_f32 v[56:57], v[32:33], s[44:45], v[42:43] neg_lo:[1,0,0] neg_hi:[1,0,0]
	v_pk_fma_f32 v[178:179], v[32:33], s[44:45], v[42:43]
	v_pk_mul_f32 v[40:41], v[40:41], s[34:35]
	v_mov_b32_e32 v57, v179
	v_pk_fma_f32 v[46:47], v[26:27], s[0:1], v[46:47] neg_lo:[0,0,1] neg_hi:[0,0,1]
	v_pk_add_f32 v[54:55], v[56:57], v[54:55]
	v_pk_fma_f32 v[34:35], v[34:35], s[20:21], v[40:41] op_sel:[1,0,0] op_sel_hi:[0,1,1] neg_lo:[1,0,0] neg_hi:[1,0,0]
	v_pk_fma_f32 v[56:57], v[78:79], s[20:21], v[40:41]
	v_mov_b32_e32 v75, v47
	v_pk_fma_f32 v[46:47], v[28:29], s[2:3], v[52:53] neg_lo:[0,0,1] neg_hi:[0,0,1]
	v_pk_fma_f32 v[40:41], v[78:79], s[20:21], v[40:41] neg_lo:[0,0,1] neg_hi:[0,0,1]
	v_mov_b32_e32 v35, v57
	v_mov_b32_e32 v137, v47
	v_pk_fma_f32 v[44:45], v[30:31], s[18:19], v[44:45] neg_lo:[0,0,1] neg_hi:[0,0,1]
	v_mov_b32_e32 v57, v41
	v_pk_add_f32 v[40:41], v[24:25], v[74:75]
	v_mov_b32_e32 v177, v45
	v_pk_fma_f32 v[42:43], v[32:33], s[44:45], v[42:43] neg_lo:[0,0,1] neg_hi:[0,0,1]
	v_pk_add_f32 v[40:41], v[136:137], v[40:41]
	v_mov_b32_e32 v179, v43
	v_pk_add_f32 v[40:41], v[176:177], v[40:41]
	v_pk_add_f32 v[34:35], v[34:35], v[54:55]
	;; [unrolled: 1-line block ×3, first 2 shown]
	v_mov_b32_e32 v54, v124
	v_mov_b32_e32 v55, v69
	;; [unrolled: 1-line block ×3, first 2 shown]
	v_pk_add_f32 v[40:41], v[56:57], v[40:41]
	v_pk_add_f32 v[34:35], v[54:55], v[34:35]
	;; [unrolled: 1-line block ×3, first 2 shown]
	ds_write2_b64 v200, v[34:35], v[40:41] offset0:102 offset1:119
	v_pk_fma_f32 v[34:35], v[26:27], s[18:19], v[130:131] neg_lo:[0,0,1] neg_hi:[0,0,1]
	v_pk_fma_f32 v[40:41], v[26:27], s[20:21], v[122:123] neg_lo:[0,0,1] neg_hi:[0,0,1]
	v_mov_b32_e32 v145, v35
	v_pk_fma_f32 v[34:35], v[28:29], s[30:31], v[150:151] neg_lo:[0,0,1] neg_hi:[0,0,1]
	v_mov_b32_e32 v127, v41
	;; [unrolled: 2-line block ×9, first 2 shown]
	v_pk_add_f32 v[34:35], v[24:25], v[144:145]
	v_mov_b32_e32 v153, v41
	v_pk_add_f32 v[40:41], v[24:25], v[126:127]
	v_pk_add_f32 v[34:35], v[160:161], v[34:35]
	;; [unrolled: 1-line block ×7, first 2 shown]
	v_mov_b32_e32 v171, v175
	v_pk_add_f32 v[34:35], v[172:173], v[34:35]
	v_mov_b32_e32 v155, v157
	v_pk_add_f32 v[40:41], v[152:153], v[40:41]
	v_pk_add_f32 v[34:35], v[170:171], v[34:35]
	;; [unrolled: 1-line block ×3, first 2 shown]
	ds_write2_b64 v200, v[34:35], v[40:41] offset0:136 offset1:153
	v_pk_fma_f32 v[34:35], v[26:27], s[22:23], v[104:105] neg_lo:[0,0,1] neg_hi:[0,0,1]
	v_pk_fma_f32 v[26:27], v[26:27], s[16:17], v[64:65] neg_lo:[0,0,1] neg_hi:[0,0,1]
	v_mov_b32_e32 v99, v35
	v_pk_fma_f32 v[34:35], v[28:29], s[0:1], v[106:107] neg_lo:[0,0,1] neg_hi:[0,0,1]
	v_mov_b32_e32 v59, v27
	v_mov_b32_e32 v101, v35
	v_pk_fma_f32 v[34:35], v[30:31], s[36:37], v[110:111] neg_lo:[0,0,1] neg_hi:[0,0,1]
	v_pk_fma_f32 v[26:27], v[28:29], s[20:21], v[66:67] neg_lo:[0,0,1] neg_hi:[0,0,1]
	v_mov_b32_e32 v103, v35
	v_pk_fma_f32 v[34:35], v[32:33], s[2:3], v[116:117] neg_lo:[0,0,1] neg_hi:[0,0,1]
	v_mov_b32_e32 v61, v27
	v_mov_b32_e32 v109, v35
	v_pk_fma_f32 v[34:35], v[78:79], s[16:17], v[118:119] neg_lo:[0,0,1] neg_hi:[0,0,1]
	v_pk_fma_f32 v[26:27], v[30:31], s[0:1], v[72:73] neg_lo:[0,0,1] neg_hi:[0,0,1]
	v_mov_b32_e32 v113, v35
	v_pk_add_f32 v[34:35], v[24:25], v[98:99]
	v_pk_add_f32 v[24:25], v[24:25], v[58:59]
	;; [unrolled: 1-line block ×3, first 2 shown]
	v_mov_b32_e32 v63, v27
	v_pk_fma_f32 v[26:27], v[32:33], s[28:29], v[76:77] neg_lo:[0,0,1] neg_hi:[0,0,1]
	v_pk_add_f32 v[24:25], v[60:61], v[24:25]
	v_pk_add_f32 v[34:35], v[102:103], v[34:35]
	v_mov_b32_e32 v71, v27
	v_pk_fma_f32 v[26:27], v[78:79], s[30:31], v[92:93] neg_lo:[0,0,1] neg_hi:[0,0,1]
	v_pk_add_f32 v[24:25], v[62:63], v[24:25]
	v_pk_add_f32 v[34:35], v[108:109], v[34:35]
	v_mov_b32_e32 v91, v27
	v_pk_add_f32 v[24:25], v[70:71], v[24:25]
	v_mov_b32_e32 v115, v121
	;; [unrolled: 2-line block ×3, first 2 shown]
	v_pk_add_f32 v[24:25], v[90:91], v[24:25]
	v_pk_add_f32 v[34:35], v[114:115], v[34:35]
	;; [unrolled: 1-line block ×3, first 2 shown]
	v_add_u32_e32 v19, 0x400, v80
	ds_write2_b64 v200, v[34:35], v[24:25] offset0:170 offset1:187
	ds_write_b64 v200, v[48:49] offset:1632
	s_waitcnt lgkmcnt(0)
	; wave barrier
	s_waitcnt lgkmcnt(0)
	ds_read2_b64 v[74:77], v19 offset0:93 offset1:144
	ds_read2_b64 v[52:55], v81 offset0:186 offset1:237
	ds_read2_b64 v[60:63], v80 offset1:51
	ds_read2_b64 v[70:73], v80 offset0:102 offset1:153
	ds_read2_b64 v[64:67], v81 offset0:67 offset1:118
	;; [unrolled: 1-line block ×3, first 2 shown]
	v_cmp_gt_u16_e64 s[2:3], 17, v234
	s_and_saveexec_b64 s[0:1], s[2:3]
	s_cbranch_execz .LBB0_9
; %bb.8:
	v_add_u32_e32 v0, 0x600, v80
	ds_read2_b64 v[48:51], v0 offset0:12 offset1:233
	ds_read_b64 v[36:37], v80 offset:5168
.LBB0_9:
	s_or_b64 exec, exec, s[0:1]
	v_lshlrev_b32_e32 v0, 4, v234
	global_load_dwordx4 v[32:35], v0, s[6:7] offset:1632
	v_add_u32_e32 v1, 0x990, v0
	global_load_dwordx4 v[28:31], v1, s[6:7] offset:1632
	v_add_u32_e32 v1, 0x330, v0
	;; [unrolled: 2-line block ×3, first 2 shown]
	global_load_dwordx4 v[44:47], v0, s[6:7] offset:1632
	s_movk_i32 s16, 0xffef
	s_mov_b64 s[0:1], 0xcc
	s_mov_b32 s17, -1
	v_lshl_add_u64 v[24:25], v[234:235], 0, s[0:1]
	v_lshl_add_u64 v[26:27], v[234:235], 0, s[16:17]
	v_cndmask_b32_e64 v25, v27, v25, s[2:3]
	v_cndmask_b32_e64 v24, v26, v24, s[2:3]
	v_lshl_add_u64 v[24:25], v[24:25], 4, s[6:7]
	global_load_dwordx4 v[242:245], v[24:25], off offset:1632
	s_mov_b32 s0, 0x3f5db3d7
	s_waitcnt vmcnt(4) lgkmcnt(5)
	v_pk_mul_f32 v[68:69], v[74:75], v[32:33] op_sel:[0,1]
	v_mov_b32_e32 v78, v35
	v_pk_fma_f32 v[98:99], v[74:75], v[32:33], v[68:69] op_sel:[0,0,1] op_sel_hi:[1,1,0] neg_lo:[0,0,1] neg_hi:[0,0,1]
	v_pk_fma_f32 v[68:69], v[74:75], v[32:33], v[68:69] op_sel:[0,0,1] op_sel_hi:[1,0,0]
	s_waitcnt vmcnt(3)
	v_mov_b32_e32 v90, v29
	s_waitcnt lgkmcnt(1)
	v_pk_mul_f32 v[92:93], v[66:67], v[28:29] op_sel:[1,0] op_sel_hi:[0,1]
	v_mov_b32_e32 v94, v31
	s_waitcnt lgkmcnt(0)
	v_pk_mul_f32 v[96:97], v[58:59], v[30:31] op_sel:[1,0] op_sel_hi:[0,1]
	v_pk_mul_f32 v[74:75], v[52:53], v[78:79] op_sel_hi:[1,0]
	s_waitcnt vmcnt(2)
	v_pk_mul_f32 v[78:79], v[76:77], v[40:41] op_sel:[0,1]
	v_mov_b32_e32 v68, v43
	s_waitcnt vmcnt(1)
	v_pk_mul_f32 v[100:101], v[64:65], v[44:45] op_sel:[0,1]
	v_mov_b32_e32 v102, v47
	v_pk_mul_f32 v[90:91], v[66:67], v[90:91] op_sel:[1,0] op_sel_hi:[0,1]
	v_mov_b32_e32 v83, v92
	v_pk_mul_f32 v[92:93], v[58:59], v[94:95] op_sel:[1,0] op_sel_hi:[0,1]
	v_mov_b32_e32 v95, v96
	v_mov_b32_e32 v99, v69
	v_pk_fma_f32 v[96:97], v[52:53], v[34:35], v[74:75] op_sel:[0,0,1] op_sel_hi:[1,1,0] neg_lo:[0,0,1] neg_hi:[0,0,1]
	v_pk_fma_f32 v[52:53], v[52:53], v[34:35], v[74:75] op_sel:[0,0,1] op_sel_hi:[1,0,0]
	v_pk_fma_f32 v[74:75], v[76:77], v[40:41], v[78:79] op_sel:[0,0,1] op_sel_hi:[1,1,0] neg_lo:[0,0,1] neg_hi:[0,0,1]
	v_pk_fma_f32 v[76:77], v[76:77], v[40:41], v[78:79] op_sel:[0,0,1] op_sel_hi:[1,0,0]
	v_pk_mul_f32 v[68:69], v[54:55], v[68:69] op_sel_hi:[1,0]
	v_pk_fma_f32 v[78:79], v[64:65], v[44:45], v[100:101] op_sel:[0,0,1] op_sel_hi:[1,1,0] neg_lo:[0,0,1] neg_hi:[0,0,1]
	v_pk_fma_f32 v[64:65], v[64:65], v[44:45], v[100:101] op_sel:[0,0,1] op_sel_hi:[1,0,0]
	v_pk_mul_f32 v[100:101], v[56:57], v[102:103] op_sel_hi:[1,0]
	v_pk_fma_f32 v[90:91], v[66:67], v[28:29], v[90:91] neg_lo:[0,0,1] neg_hi:[0,0,1]
	v_pk_fma_f32 v[102:103], v[66:67], v[28:29], v[82:83] op_sel:[1,0,0] op_sel_hi:[0,1,1]
	v_mov_b32_e32 v97, v53
	v_mov_b32_e32 v75, v77
	v_pk_fma_f32 v[66:67], v[54:55], v[42:43], v[68:69] op_sel:[0,0,1] op_sel_hi:[1,1,0] neg_lo:[0,0,1] neg_hi:[0,0,1]
	v_pk_fma_f32 v[52:53], v[54:55], v[42:43], v[68:69] op_sel:[0,0,1] op_sel_hi:[1,0,0]
	v_pk_fma_f32 v[92:93], v[58:59], v[30:31], v[92:93] neg_lo:[0,0,1] neg_hi:[0,0,1]
	v_pk_fma_f32 v[94:95], v[58:59], v[30:31], v[94:95] op_sel:[1,0,0] op_sel_hi:[0,1,1]
	v_pk_add_f32 v[54:55], v[60:61], v[98:99]
	v_mov_b32_e32 v79, v65
	v_pk_fma_f32 v[64:65], v[56:57], v[46:47], v[100:101] op_sel:[0,0,1] op_sel_hi:[1,1,0] neg_lo:[0,0,1] neg_hi:[0,0,1]
	v_pk_fma_f32 v[56:57], v[56:57], v[46:47], v[100:101] op_sel:[0,0,1] op_sel_hi:[1,0,0]
	v_mov_b32_e32 v67, v53
	v_pk_add_f32 v[58:59], v[98:99], v[96:97] neg_lo:[0,1] neg_hi:[0,1]
	v_pk_add_f32 v[68:69], v[62:63], v[74:75]
	v_pk_add_f32 v[52:53], v[54:55], v[96:97]
	;; [unrolled: 1-line block ×3, first 2 shown]
	v_mov_b32_e32 v65, v57
	v_pk_add_f32 v[56:57], v[70:71], v[78:79]
	v_pk_mul_f32 v[76:77], v[58:59], s[0:1] op_sel_hi:[1,0]
	v_pk_add_f32 v[58:59], v[68:69], v[66:67]
	v_pk_add_f32 v[68:69], v[74:75], v[66:67]
	v_pk_add_f32 v[66:67], v[74:75], v[66:67] neg_lo:[0,1] neg_hi:[0,1]
	v_pk_fma_f32 v[54:55], v[54:55], 0.5, v[60:61] op_sel_hi:[1,0,1] neg_lo:[1,0,0] neg_hi:[1,0,0]
	v_pk_add_f32 v[60:61], v[56:57], v[64:65]
	v_pk_add_f32 v[74:75], v[78:79], v[64:65]
	v_pk_add_f32 v[64:65], v[78:79], v[64:65] neg_lo:[0,1] neg_hi:[0,1]
	v_pk_fma_f32 v[62:63], v[68:69], 0.5, v[62:63] op_sel_hi:[1,0,1] neg_lo:[1,0,0] neg_hi:[1,0,0]
	v_pk_mul_f32 v[66:67], v[66:67], s[0:1] op_sel_hi:[1,0]
	v_pk_fma_f32 v[68:69], v[74:75], 0.5, v[70:71] op_sel_hi:[1,0,1] neg_lo:[1,0,0] neg_hi:[1,0,0]
	v_pk_mul_f32 v[64:65], v[64:65], s[0:1] op_sel_hi:[1,0]
	v_pk_add_f32 v[70:71], v[62:63], v[66:67] op_sel:[0,1] op_sel_hi:[1,0]
	v_pk_add_f32 v[66:67], v[62:63], v[66:67] op_sel:[0,1] op_sel_hi:[1,0] neg_lo:[0,1] neg_hi:[0,1]
	v_pk_add_f32 v[96:97], v[68:69], v[64:65] op_sel:[0,1] op_sel_hi:[1,0]
	v_pk_add_f32 v[68:69], v[68:69], v[64:65] op_sel:[0,1] op_sel_hi:[1,0] neg_lo:[0,1] neg_hi:[0,1]
	v_mov_b32_e32 v64, v70
	v_mov_b32_e32 v65, v67
	;; [unrolled: 1-line block ×3, first 2 shown]
	s_waitcnt vmcnt(0)
	v_pk_mul_f32 v[70:71], v[50:51], v[242:243] op_sel:[1,0]
	v_pk_add_f32 v[78:79], v[54:55], v[76:77] op_sel:[0,1] op_sel_hi:[1,0]
	v_pk_add_f32 v[56:57], v[54:55], v[76:77] op_sel:[0,1] op_sel_hi:[1,0] neg_lo:[0,1] neg_hi:[0,1]
	v_pk_fma_f32 v[76:77], v[50:51], v[242:243], v[70:71] op_sel:[0,0,1] op_sel_hi:[1,1,0] neg_lo:[0,0,1] neg_hi:[0,0,1]
	v_pk_fma_f32 v[50:51], v[50:51], v[242:243], v[70:71] op_sel:[0,0,1] op_sel_hi:[0,1,0]
	v_mov_b32_e32 v77, v51
	v_pk_mul_f32 v[50:51], v[36:37], v[244:245] op_sel:[1,0]
	v_mov_b32_e32 v54, v78
	v_mov_b32_e32 v55, v57
	;; [unrolled: 1-line block ×3, first 2 shown]
	v_pk_fma_f32 v[78:79], v[36:37], v[244:245], v[50:51] op_sel:[0,0,1] op_sel_hi:[1,1,0] neg_lo:[0,0,1] neg_hi:[0,0,1]
	v_pk_fma_f32 v[36:37], v[36:37], v[244:245], v[50:51] op_sel:[0,0,1] op_sel_hi:[0,1,0]
	v_mov_b32_e32 v91, v103
	v_mov_b32_e32 v79, v37
	v_pk_add_f32 v[36:37], v[72:73], v[90:91]
	v_mov_b32_e32 v93, v95
	v_pk_add_f32 v[70:71], v[36:37], v[92:93]
	v_pk_add_f32 v[36:37], v[90:91], v[92:93]
	v_pk_add_f32 v[50:51], v[90:91], v[92:93] neg_lo:[0,1] neg_hi:[0,1]
	v_pk_fma_f32 v[36:37], v[36:37], 0.5, v[72:73] op_sel_hi:[1,0,1] neg_lo:[1,0,0] neg_hi:[1,0,0]
	v_pk_mul_f32 v[50:51], v[50:51], s[0:1] op_sel_hi:[1,0]
	v_mov_b32_e32 v62, v96
	v_pk_add_f32 v[90:91], v[36:37], v[50:51] op_sel:[0,1] op_sel_hi:[1,0]
	v_pk_add_f32 v[74:75], v[36:37], v[50:51] op_sel:[0,1] op_sel_hi:[1,0] neg_lo:[0,1] neg_hi:[0,1]
	v_pk_add_f32 v[50:51], v[76:77], v[78:79]
	v_pk_add_f32 v[36:37], v[48:49], v[76:77]
	v_pk_fma_f32 v[48:49], v[50:51], 0.5, v[48:49] op_sel_hi:[1,0,1] neg_lo:[1,0,0] neg_hi:[1,0,0]
	v_pk_add_f32 v[50:51], v[76:77], v[78:79] neg_lo:[0,1] neg_hi:[0,1]
	v_mov_b32_e32 v72, v90
	v_pk_mul_f32 v[50:51], v[50:51], s[0:1] op_sel_hi:[1,0]
	v_mov_b32_e32 v73, v75
	v_mov_b32_e32 v75, v91
	v_pk_add_f32 v[76:77], v[36:37], v[78:79]
	v_pk_add_f32 v[90:91], v[48:49], v[50:51] op_sel:[0,1] op_sel_hi:[1,0]
	v_pk_add_f32 v[36:37], v[48:49], v[50:51] op_sel:[0,1] op_sel_hi:[1,0] neg_lo:[0,1] neg_hi:[0,1]
	v_mov_b32_e32 v63, v69
	v_mov_b32_e32 v78, v90
	;; [unrolled: 1-line block ×5, first 2 shown]
	ds_write2_b64 v80, v[52:53], v[58:59] offset1:51
	ds_write2_b64 v19, v[54:55], v[64:65] offset0:93 offset1:144
	ds_write2_b64 v81, v[56:57], v[66:67] offset0:186 offset1:237
	;; [unrolled: 1-line block ×5, first 2 shown]
	s_and_saveexec_b64 s[0:1], s[2:3]
	s_cbranch_execz .LBB0_11
; %bb.10:
	v_add_u32_e32 v0, 0x600, v80
	ds_write2_b64 v0, v[76:77], v[78:79] offset0:12 offset1:233
	ds_write_b64 v80, v[36:37] offset:5168
.LBB0_11:
	s_or_b64 exec, exec, s[0:1]
	s_waitcnt lgkmcnt(0)
	; wave barrier
	s_waitcnt lgkmcnt(0)
	s_and_saveexec_b64 s[0:1], s[4:5]
	s_cbranch_execz .LBB0_13
; %bb.12:
	v_mov_b32_e32 v81, 0
	v_lshl_add_u64 v[48:49], s[12:13], 0, v[80:81]
	v_add_co_u32_e32 v50, vcc, 0x1000, v48
	s_mov_b64 s[6:7], 0x14b8
	s_nop 0
	v_addc_co_u32_e32 v51, vcc, 0, v49, vcc
	global_load_dwordx2 v[50:51], v[50:51], off offset:1208
	v_lshl_add_u64 v[90:91], v[48:49], 0, s[6:7]
	global_load_dwordx2 v[110:111], v[90:91], off offset:312
	global_load_dwordx2 v[112:113], v[90:91], off offset:624
	;; [unrolled: 1-line block ×12, first 2 shown]
	s_movk_i32 s6, 0x2000
	v_add_co_u32_e32 v48, vcc, s6, v48
	v_add_u32_e32 v0, 0x800, v80
	s_nop 0
	v_addc_co_u32_e32 v49, vcc, 0, v49, vcc
	global_load_dwordx2 v[134:135], v[48:49], off offset:1480
	global_load_dwordx2 v[136:137], v[48:49], off offset:1792
	;; [unrolled: 1-line block ×4, first 2 shown]
	ds_read_b64 v[90:91], v80
	v_mov_b64_e32 v[86:87], v[84:85]
	s_waitcnt vmcnt(16) lgkmcnt(0)
	v_mul_f32_e32 v1, v91, v51
	v_mul_f32_e32 v49, v90, v51
	v_fma_f32 v48, v90, v50, -v1
	v_fmac_f32_e32 v49, v91, v50
	ds_write_b64 v80, v[48:49]
	ds_read2_b64 v[48:51], v80 offset0:39 offset1:78
	ds_read2_b64 v[90:93], v80 offset0:117 offset1:156
	;; [unrolled: 1-line block ×6, first 2 shown]
	s_waitcnt vmcnt(15) lgkmcnt(5)
	v_mul_f32_e32 v1, v49, v111
	v_mul_f32_e32 v145, v48, v111
	s_waitcnt vmcnt(14)
	v_mul_f32_e32 v2, v51, v113
	v_mul_f32_e32 v111, v50, v113
	s_waitcnt vmcnt(13) lgkmcnt(4)
	v_mul_f32_e32 v3, v91, v115
	v_mul_f32_e32 v113, v90, v115
	s_waitcnt vmcnt(12)
	v_mul_f32_e32 v19, v93, v117
	v_mul_f32_e32 v115, v92, v117
	;; [unrolled: 6-line block ×5, first 2 shown]
	v_fma_f32 v144, v48, v110, -v1
	v_fmac_f32_e32 v145, v49, v110
	v_fma_f32 v110, v50, v112, -v2
	v_fmac_f32_e32 v111, v51, v112
	;; [unrolled: 2-line block ×10, first 2 shown]
	ds_write2_b64 v80, v[144:145], v[110:111] offset0:39 offset1:78
	ds_write2_b64 v80, v[112:113], v[114:115] offset0:117 offset1:156
	;; [unrolled: 1-line block ×5, first 2 shown]
	v_add_u32_e32 v1, 0xc00, v80
	s_waitcnt vmcnt(5) lgkmcnt(5)
	v_mul_f32_e32 v83, v107, v131
	v_mul_f32_e32 v129, v106, v131
	s_waitcnt vmcnt(4)
	v_mul_f32_e32 v84, v109, v133
	ds_read2_b64 v[48:51], v1 offset0:123 offset1:162
	v_mul_f32_e32 v91, v108, v133
	v_fma_f32 v128, v106, v130, -v83
	v_fmac_f32_e32 v129, v107, v130
	v_fma_f32 v90, v108, v132, -v84
	v_fmac_f32_e32 v91, v109, v132
	v_add_u32_e32 v2, 0x1000, v80
	ds_write2_b64 v0, v[128:129], v[90:91] offset0:173 offset1:212
	ds_read2_b64 v[90:93], v2 offset0:73 offset1:112
	s_waitcnt vmcnt(1) lgkmcnt(2)
	v_mul_f32_e32 v0, v49, v139
	v_mul_f32_e32 v95, v48, v139
	v_fma_f32 v94, v48, v138, -v0
	v_fmac_f32_e32 v95, v49, v138
	v_mul_f32_e32 v0, v51, v135
	v_mul_f32_e32 v49, v50, v135
	v_fma_f32 v48, v50, v134, -v0
	v_fmac_f32_e32 v49, v51, v134
	s_waitcnt lgkmcnt(0)
	v_mul_f32_e32 v0, v91, v137
	ds_write2_b64 v1, v[94:95], v[48:49] offset0:123 offset1:162
	v_fma_f32 v48, v90, v136, -v0
	v_mul_f32_e32 v49, v90, v137
	s_waitcnt vmcnt(0)
	v_mul_f32_e32 v0, v93, v143
	v_mul_f32_e32 v51, v92, v143
	v_mov_b64_e32 v[84:85], v[86:87]
	v_fmac_f32_e32 v49, v91, v136
	v_fma_f32 v50, v92, v142, -v0
	v_fmac_f32_e32 v51, v93, v142
	ds_write2_b64 v2, v[48:49], v[50:51] offset0:73 offset1:112
.LBB0_13:
	s_or_b64 exec, exec, s[0:1]
	s_waitcnt lgkmcnt(0)
	; wave barrier
	s_waitcnt lgkmcnt(0)
	s_and_saveexec_b64 s[0:1], s[4:5]
	s_cbranch_execz .LBB0_15
; %bb.14:
	v_add_u32_e32 v0, 0x400, v80
	ds_read2_b64 v[52:55], v80 offset1:39
	ds_read2_b64 v[56:59], v80 offset0:78 offset1:117
	ds_read2_b64 v[64:67], v80 offset0:156 offset1:195
	;; [unrolled: 1-line block ×3, first 2 shown]
	v_add_u32_e32 v0, 0x800, v80
	ds_read2_b64 v[68:71], v0 offset0:56 offset1:95
	ds_read2_b64 v[72:75], v0 offset0:134 offset1:173
	;; [unrolled: 1-line block ×3, first 2 shown]
	v_add_u32_e32 v0, 0x1000, v80
	ds_read2_b64 v[36:39], v0 offset0:34 offset1:73
	ds_read_b64 v[84:85], v80 offset:4992
.LBB0_15:
	s_or_b64 exec, exec, s[0:1]
	s_waitcnt lgkmcnt(1)
	v_pk_add_f32 v[50:51], v[56:57], v[38:39] neg_lo:[0,1] neg_hi:[0,1]
	v_pk_add_f32 v[132:133], v[56:57], v[38:39]
	v_mov_b32_e32 v49, v50
	v_mov_b32_e32 v48, v132
	v_mov_b32_e32 v132, v51
	v_pk_add_f32 v[50:51], v[58:59], v[36:37] neg_lo:[0,1] neg_hi:[0,1]
	v_pk_add_f32 v[130:131], v[58:59], v[36:37]
	v_mov_b32_e32 v93, v50
	v_mov_b32_e32 v92, v130
	v_mov_b32_e32 v130, v51
	;; [unrolled: 5-line block ×5, first 2 shown]
	v_pk_add_f32 v[50:51], v[62:63], v[72:73] neg_lo:[0,1] neg_hi:[0,1]
	v_pk_add_f32 v[122:123], v[62:63], v[72:73]
	s_waitcnt lgkmcnt(0)
	v_pk_add_f32 v[134:135], v[84:85], v[54:55]
	v_pk_add_f32 v[136:137], v[54:55], v[84:85] neg_lo:[0,1] neg_hi:[0,1]
	v_mov_b32_e32 v100, v122
	v_mov_b32_e32 v101, v50
	;; [unrolled: 1-line block ×3, first 2 shown]
	v_pk_add_f32 v[50:51], v[68:69], v[70:71] neg_lo:[0,1] neg_hi:[0,1]
	v_pk_add_f32 v[120:121], v[68:69], v[70:71]
	s_mov_b32 s62, 0xbf65296c
	v_mov_b32_e32 v102, v120
	v_mov_b32_e32 v103, v50
	;; [unrolled: 1-line block ×5, first 2 shown]
	s_mov_b32 s63, 0x3ee437d1
	s_mov_b32 s34, 0xbf4c4adb
	v_pk_mul_f32 v[170:171], v[50:51], s[62:63]
	v_mov_b32_e32 v138, v134
	v_mov_b32_e32 v139, v136
	s_mov_b32 s0, s63
	s_mov_b32 s1, s62
	;; [unrolled: 1-line block ×3, first 2 shown]
	v_pk_fma_f32 v[90:91], v[138:139], s[0:1], v[170:171] neg_lo:[0,0,1] neg_hi:[0,0,1]
	v_pk_fma_f32 v[172:173], v[138:139], s[0:1], v[170:171]
	v_pk_mul_f32 v[174:175], v[132:133], s[34:35]
	s_mov_b32 s6, s35
	s_mov_b32 s7, s34
	;; [unrolled: 1-line block ×3, first 2 shown]
	v_mov_b32_e32 v91, v173
	v_pk_fma_f32 v[104:105], v[48:49], s[6:7], v[174:175] neg_lo:[0,0,1] neg_hi:[0,0,1]
	v_pk_fma_f32 v[176:177], v[48:49], s[6:7], v[174:175]
	s_mov_b32 s16, 0x3e3c28d5
	s_mov_b32 s17, s40
	v_pk_add_f32 v[90:91], v[52:53], v[90:91]
	v_mov_b32_e32 v105, v177
	v_pk_mul_f32 v[178:179], v[130:131], s[16:17]
	s_mov_b32 s41, s16
	s_mov_b32 s60, 0x3f763a35
	v_pk_add_f32 v[90:91], v[104:105], v[90:91]
	v_pk_fma_f32 v[104:105], v[92:93], s[40:41], v[178:179] neg_lo:[0,0,1] neg_hi:[0,0,1]
	v_pk_fma_f32 v[180:181], v[92:93], s[40:41], v[178:179]
	s_mov_b32 s61, 0xbe8c1d8e
	v_mov_b32_e32 v105, v181
	v_pk_mul_f32 v[182:183], v[128:129], s[60:61]
	s_mov_b32 s16, s61
	s_mov_b32 s17, s60
	s_mov_b32 s42, 0x3f2c7751
	v_pk_add_f32 v[90:91], v[104:105], v[90:91]
	v_pk_fma_f32 v[104:105], v[94:95], s[16:17], v[182:183] neg_lo:[0,0,1] neg_hi:[0,0,1]
	v_pk_fma_f32 v[184:185], v[94:95], s[16:17], v[182:183]
	s_mov_b32 s43, 0x3f3d2fb0
	v_mov_b32_e32 v105, v185
	v_pk_mul_f32 v[186:187], v[126:127], s[42:43]
	s_mov_b32 s26, s43
	;; [unrolled: 9-line block ×5, first 2 shown]
	s_mov_b32 s21, s46
	v_pk_add_f32 v[90:91], v[104:105], v[90:91]
	v_pk_fma_f32 v[104:105], v[102:103], s[20:21], v[2:3] neg_lo:[0,0,1] neg_hi:[0,0,1]
	v_pk_fma_f32 v[204:205], v[102:103], s[20:21], v[2:3]
	v_pk_mul_f32 v[0:1], v[50:51], s[56:57]
	s_mov_b32 s50, 0xbe3c28d5
	s_mov_b32 s51, s40
	v_mov_b32_e32 v105, v205
	v_pk_fma_f32 v[50:51], v[138:139], s[18:19], v[0:1] neg_lo:[0,0,1] neg_hi:[0,0,1]
	v_pk_fma_f32 v[198:199], v[138:139], s[18:19], v[0:1]
	v_pk_mul_f32 v[206:207], v[132:133], s[50:51]
	s_mov_b32 s22, s40
	s_mov_b32 s23, s50
	v_pk_add_f32 v[246:247], v[104:105], v[90:91]
	v_mov_b32_e32 v51, v199
	v_pk_fma_f32 v[104:105], v[48:49], s[22:23], v[206:207] neg_lo:[0,0,1] neg_hi:[0,0,1]
	v_pk_fma_f32 v[208:209], v[48:49], s[22:23], v[206:207]
	v_pk_add_f32 v[50:51], v[52:53], v[50:51]
	v_mov_b32_e32 v105, v209
	v_pk_mul_f32 v[212:213], v[130:131], s[60:61]
	v_pk_add_f32 v[50:51], v[104:105], v[50:51]
	v_pk_fma_f32 v[104:105], v[92:93], s[16:17], v[212:213] neg_lo:[0,0,1] neg_hi:[0,0,1]
	v_pk_fma_f32 v[210:211], v[92:93], s[16:17], v[212:213]
	s_mov_b32 s55, s49
	v_mov_b32_e32 v105, v211
	v_pk_mul_f32 v[214:215], v[128:129], s[54:55]
	s_mov_b32 s28, s49
	s_mov_b32 s29, s54
	v_pk_add_f32 v[50:51], v[104:105], v[50:51]
	v_pk_fma_f32 v[104:105], v[94:95], s[28:29], v[214:215] neg_lo:[0,0,1] neg_hi:[0,0,1]
	v_pk_fma_f32 v[216:217], v[94:95], s[28:29], v[214:215]
	v_pk_mul_f32 v[220:221], v[126:127], s[62:63]
	v_mov_b32_e32 v105, v217
	v_pk_add_f32 v[50:51], v[104:105], v[50:51]
	v_pk_fma_f32 v[104:105], v[96:97], s[0:1], v[220:221] neg_lo:[0,0,1] neg_hi:[0,0,1]
	v_pk_fma_f32 v[218:219], v[96:97], s[0:1], v[220:221]
	v_pk_mul_f32 v[224:225], v[124:125], s[46:47]
	v_mov_b32_e32 v105, v219
	v_pk_add_f32 v[50:51], v[104:105], v[50:51]
	v_pk_fma_f32 v[104:105], v[98:99], s[20:21], v[224:225] neg_lo:[0,0,1] neg_hi:[0,0,1]
	v_pk_fma_f32 v[222:223], v[98:99], s[20:21], v[224:225]
	s_mov_b32 s64, 0x3f4c4adb
	s_mov_b32 s65, s35
	v_mov_b32_e32 v105, v223
	v_pk_mul_f32 v[226:227], v[122:123], s[64:65]
	s_mov_b32 s44, s35
	s_mov_b32 s45, s64
	v_pk_add_f32 v[50:51], v[104:105], v[50:51]
	v_pk_fma_f32 v[104:105], v[100:101], s[44:45], v[226:227] neg_lo:[0,0,1] neg_hi:[0,0,1]
	v_pk_fma_f32 v[228:229], v[100:101], s[44:45], v[226:227]
	v_pk_mul_f32 v[232:233], v[120:121], s[42:43]
	v_mov_b32_e32 v105, v229
	v_pk_fma_f32 v[142:143], v[102:103], s[26:27], v[232:233] neg_lo:[0,0,1] neg_hi:[0,0,1]
	v_pk_fma_f32 v[230:231], v[102:103], s[26:27], v[232:233]
	v_pk_add_f32 v[50:51], v[104:105], v[50:51]
	v_mov_b32_e32 v143, v231
	v_mov_b32_e32 v19, v18
	;; [unrolled: 1-line block ×27, first 2 shown]
	v_pk_add_f32 v[250:251], v[142:143], v[50:51]
	s_waitcnt lgkmcnt(0)
	; wave barrier
	s_and_saveexec_b64 s[30:31], s[4:5]
	s_cbranch_execz .LBB0_17
; %bb.16:
	v_pk_add_f32 v[54:55], v[54:55], v[52:53]
	s_mov_b32 s36, s49
	v_pk_add_f32 v[54:55], v[56:57], v[54:55]
	v_pk_mul_f32 v[144:145], v[136:137], s[48:49] op_sel_hi:[1,0]
	v_pk_add_f32 v[54:55], v[58:59], v[54:55]
	s_mov_b32 s71, s43
	v_pk_add_f32 v[54:55], v[64:65], v[54:55]
	v_pk_mul_f32 v[64:65], v[128:129], s[56:57]
	v_pk_add_f32 v[54:55], v[66:67], v[54:55]
	s_mov_b32 s39, 0xbf763a35
	v_pk_add_f32 v[54:55], v[60:61], v[54:55]
	v_pk_mul_f32 v[60:61], v[130:131], s[62:63]
	v_pk_add_f32 v[54:55], v[62:63], v[54:55]
	s_mov_b32 s66, s39
	v_pk_add_f32 v[54:55], v[68:69], v[54:55]
	s_mov_b32 s67, s61
	;; [unrolled: 2-line block ×3, first 2 shown]
	v_pk_add_f32 v[54:55], v[72:73], v[54:55]
	v_pk_mul_f32 v[68:69], v[126:127], s[66:67]
	v_pk_add_f32 v[54:55], v[74:75], v[54:55]
	v_pk_mul_f32 v[72:73], v[124:125], s[34:35]
	v_pk_add_f32 v[54:55], v[76:77], v[54:55]
	v_pk_fma_f32 v[70:71], v[98:99], s[6:7], v[72:73]
	v_pk_add_f32 v[54:55], v[78:79], v[54:55]
	v_pk_mul_f32 v[76:77], v[122:123], s[46:47]
	v_pk_add_f32 v[36:37], v[36:37], v[54:55]
	v_pk_fma_f32 v[74:75], v[100:101], s[20:21], v[76:77]
	v_pk_add_f32 v[36:37], v[38:39], v[36:37]
	v_pk_fma_f32 v[38:39], v[134:135], s[36:37], v[144:145] op_sel:[0,0,1] op_sel_hi:[1,0,0] neg_lo:[0,0,1] neg_hi:[0,0,1]
	v_pk_add_f32 v[54:55], v[84:85], v[36:37]
	v_pk_fma_f32 v[36:37], v[134:135], s[36:37], v[144:145] op_sel:[0,0,1] op_sel_hi:[1,0,0]
	s_mov_b32 s37, 0xbf2c7751
	s_mov_b32 s70, s37
	;; [unrolled: 1-line block ×3, first 2 shown]
	v_pk_mul_f32 v[62:63], v[132:133], s[70:71]
	v_accvgpr_write_b32 a1, v37
	v_mov_b32_e32 v37, v39
	v_pk_fma_f32 v[24:25], v[48:49], s[36:37], v[62:63]
	v_pk_fma_f32 v[58:59], v[48:49], s[36:37], v[62:63] neg_lo:[1,0,0] neg_hi:[1,0,0]
	v_pk_add_f32 v[36:37], v[52:53], v[36:37]
	v_mov_b32_e32 v58, v24
	v_accvgpr_write_b32 a3, v25
	v_pk_add_f32 v[36:37], v[58:59], v[36:37]
	v_pk_fma_f32 v[24:25], v[92:93], s[0:1], v[60:61]
	v_pk_fma_f32 v[58:59], v[92:93], s[0:1], v[60:61] neg_lo:[1,0,0] neg_hi:[1,0,0]
	v_accvgpr_write_b32 a19, v25
	v_mov_b32_e32 v58, v24
	v_pk_add_f32 v[36:37], v[58:59], v[36:37]
	v_pk_fma_f32 v[24:25], v[94:95], s[18:19], v[64:65]
	v_pk_fma_f32 v[58:59], v[94:95], s[18:19], v[64:65] neg_lo:[1,0,0] neg_hi:[1,0,0]
	v_accvgpr_write_b32 a21, v25
	v_mov_b32_e32 v58, v24
	v_pk_add_f32 v[36:37], v[58:59], v[36:37]
	v_pk_fma_f32 v[24:25], v[96:97], s[38:39], v[68:69]
	v_pk_fma_f32 v[58:59], v[96:97], s[38:39], v[68:69] neg_lo:[1,0,0] neg_hi:[1,0,0]
	v_pk_mul_f32 v[56:57], v[120:121], s[50:51]
	v_mov_b32_e32 v58, v24
	v_pk_add_f32 v[36:37], v[58:59], v[36:37]
	v_pk_fma_f32 v[58:59], v[98:99], s[6:7], v[72:73] neg_lo:[1,0,0] neg_hi:[1,0,0]
	v_lshlrev_b32_e32 v81, 3, v140
	v_mov_b32_e32 v58, v70
	v_pk_add_f32 v[36:37], v[58:59], v[36:37]
	v_pk_fma_f32 v[58:59], v[100:101], s[20:21], v[76:77] neg_lo:[1,0,0] neg_hi:[1,0,0]
	v_pk_fma_f32 v[78:79], v[102:103], s[22:23], v[56:57]
	v_mov_b32_e32 v58, v74
	v_pk_fma_f32 v[140:141], v[102:103], s[22:23], v[56:57] neg_lo:[1,0,0] neg_hi:[1,0,0]
	v_pk_add_f32 v[58:59], v[58:59], v[36:37]
	v_mov_b32_e32 v140, v78
	v_pk_add_f32 v[58:59], v[140:141], v[58:59]
	s_mov_b32 s58, s37
	ds_write2_b64 v81, v[54:55], v[58:59] offset1:1
	s_mov_b32 s52, s43
	v_pk_mul_f32 v[54:55], v[136:137], s[58:59] op_sel_hi:[1,0]
	v_pk_mul_f32 v[144:145], v[132:133], s[56:57]
	v_pk_fma_f32 v[66:67], v[134:135], s[52:53], v[54:55] op_sel:[0,0,1] op_sel_hi:[1,0,0]
	v_pk_fma_f32 v[140:141], v[134:135], s[52:53], v[54:55] op_sel:[0,0,1] op_sel_hi:[1,0,0] neg_lo:[0,0,1] neg_hi:[0,0,1]
	v_mov_b32_e32 v54, v66
	v_mov_b32_e32 v55, v141
	v_pk_fma_f32 v[58:59], v[48:49], s[18:19], v[144:145]
	v_pk_fma_f32 v[148:149], v[48:49], s[18:19], v[144:145] neg_lo:[1,0,0] neg_hi:[1,0,0]
	v_pk_add_f32 v[146:147], v[52:53], v[54:55]
	v_mov_b32_e32 v148, v58
	v_pk_add_f32 v[150:151], v[148:149], v[146:147]
	v_pk_mul_f32 v[148:149], v[130:131], s[34:35]
	s_mov_b32 s53, 0x3f06c442
	v_pk_fma_f32 v[146:147], v[92:93], s[6:7], v[148:149]
	v_pk_fma_f32 v[152:153], v[92:93], s[6:7], v[148:149] neg_lo:[1,0,0] neg_hi:[1,0,0]
	s_mov_b32 s72, s53
	v_mov_b32_e32 v152, v146
	v_pk_add_f32 v[154:155], v[152:153], v[150:151]
	v_pk_mul_f32 v[152:153], v[128:129], s[50:51]
	s_mov_b32 s73, s47
	v_pk_fma_f32 v[150:151], v[94:95], s[22:23], v[152:153]
	v_pk_fma_f32 v[156:157], v[94:95], s[22:23], v[152:153] neg_lo:[1,0,0] neg_hi:[1,0,0]
	s_mov_b32 s52, s47
	v_mov_b32_e32 v156, v150
	v_pk_add_f32 v[158:159], v[156:157], v[154:155]
	v_pk_mul_f32 v[156:157], v[126:127], s[72:73]
	s_mov_b32 s59, 0x3f65296c
	v_pk_fma_f32 v[154:155], v[96:97], s[52:53], v[156:157]
	v_pk_fma_f32 v[160:161], v[96:97], s[52:53], v[156:157] neg_lo:[1,0,0] neg_hi:[1,0,0]
	s_mov_b32 s68, s59
	v_mov_b32_e32 v160, v154
	v_pk_add_f32 v[162:163], v[160:161], v[158:159]
	v_pk_mul_f32 v[160:161], v[124:125], s[60:61]
	s_mov_b32 s69, s63
	v_pk_fma_f32 v[158:159], v[98:99], s[16:17], v[160:161]
	v_pk_fma_f32 v[164:165], v[98:99], s[16:17], v[160:161] neg_lo:[1,0,0] neg_hi:[1,0,0]
	s_mov_b32 s58, s63
	v_mov_b32_e32 v164, v158
	v_pk_add_f32 v[166:167], v[164:165], v[162:163]
	v_pk_mul_f32 v[164:165], v[122:123], s[68:69]
	v_accvgpr_write_b32 a0, v234
	v_pk_fma_f32 v[162:163], v[100:101], s[58:59], v[164:165]
	v_pk_fma_f32 v[168:169], v[100:101], s[58:59], v[164:165] neg_lo:[1,0,0] neg_hi:[1,0,0]
	v_pk_mul_f32 v[234:235], v[138:139], s[0:1]
	v_mov_b32_e32 v168, v162
	v_pk_add_f32 v[90:91], v[168:169], v[166:167]
	v_pk_mul_f32 v[168:169], v[120:121], s[54:55]
	v_accvgpr_write_b32 a2, v236
	v_pk_fma_f32 v[54:55], v[102:103], s[28:29], v[168:169]
	v_pk_fma_f32 v[166:167], v[102:103], s[28:29], v[168:169] neg_lo:[1,0,0] neg_hi:[1,0,0]
	v_pk_mul_f32 v[236:237], v[48:49], s[6:7]
	v_mov_b32_e32 v166, v54
	v_accvgpr_write_b32 a4, v238
	v_pk_add_f32 v[90:91], v[166:167], v[90:91]
	v_pk_add_f32 v[166:167], v[170:171], v[234:235] neg_lo:[0,1] neg_hi:[0,1]
	v_accvgpr_write_b32 a5, v239
	v_accvgpr_write_b32 a6, v240
	;; [unrolled: 1-line block ×3, first 2 shown]
	v_pk_mul_f32 v[238:239], v[92:93], s[40:41]
	v_mov_b32_e32 v173, v167
	v_pk_add_f32 v[170:171], v[174:175], v[236:237] neg_lo:[0,1] neg_hi:[0,1]
	v_pk_mul_f32 v[240:241], v[94:95], s[16:17]
	v_accvgpr_write_b32 a10, v242
	v_pk_add_f32 v[166:167], v[52:53], v[172:173]
	v_mov_b32_e32 v177, v171
	v_pk_add_f32 v[170:171], v[178:179], v[238:239] neg_lo:[0,1] neg_hi:[0,1]
	v_accvgpr_write_b32 a11, v243
	v_accvgpr_write_b32 a12, v244
	;; [unrolled: 1-line block ×3, first 2 shown]
	v_pk_mul_f32 v[242:243], v[96:97], s[26:27]
	v_pk_add_f32 v[166:167], v[176:177], v[166:167]
	v_mov_b32_e32 v181, v171
	v_pk_add_f32 v[170:171], v[182:183], v[240:241] neg_lo:[0,1] neg_hi:[0,1]
	v_pk_mul_f32 v[244:245], v[98:99], s[24:25]
	v_accvgpr_write_b32 a14, v246
	v_pk_add_f32 v[166:167], v[180:181], v[166:167]
	v_mov_b32_e32 v185, v171
	v_pk_add_f32 v[170:171], v[186:187], v[242:243] neg_lo:[0,1] neg_hi:[0,1]
	v_accvgpr_write_b32 a15, v247
	v_pk_mul_f32 v[246:247], v[100:101], s[18:19]
	v_pk_add_f32 v[166:167], v[184:185], v[166:167]
	v_mov_b32_e32 v189, v171
	v_pk_add_f32 v[170:171], v[190:191], v[244:245] neg_lo:[0,1] neg_hi:[0,1]
	v_pk_mul_f32 v[248:249], v[102:103], s[20:21]
	v_pk_add_f32 v[166:167], v[188:189], v[166:167]
	v_mov_b32_e32 v193, v171
	v_pk_add_f32 v[170:171], v[194:195], v[246:247] neg_lo:[0,1] neg_hi:[0,1]
	v_pk_add_f32 v[166:167], v[192:193], v[166:167]
	v_mov_b32_e32 v197, v171
	v_pk_add_f32 v[170:171], v[2:3], v[248:249] neg_lo:[0,1] neg_hi:[0,1]
	v_accvgpr_write_b32 a16, v250
	v_pk_mul_f32 v[88:89], v[96:97], s[0:1]
	v_pk_add_f32 v[166:167], v[196:197], v[166:167]
	v_mov_b32_e32 v205, v171
	v_accvgpr_write_b32 a17, v251
	v_pk_mul_f32 v[250:251], v[138:139], s[18:19]
	v_pk_mul_f32 v[138:139], v[98:99], s[20:21]
	v_pk_add_f32 v[166:167], v[204:205], v[166:167]
	v_pk_add_f32 v[88:89], v[220:221], v[88:89] neg_lo:[0,1] neg_hi:[0,1]
	v_pk_mul_f32 v[252:253], v[48:49], s[22:23]
	v_pk_mul_f32 v[142:143], v[100:101], s[44:45]
	ds_write2_b64 v81, v[90:91], v[166:167] offset0:2 offset1:3
	v_pk_add_f32 v[90:91], v[0:1], v[250:251] neg_lo:[0,1] neg_hi:[0,1]
	v_mov_b32_e32 v219, v89
	v_pk_add_f32 v[88:89], v[224:225], v[138:139] neg_lo:[0,1] neg_hi:[0,1]
	v_pk_mul_f32 v[254:255], v[92:93], s[16:17]
	v_pk_mul_f32 v[26:27], v[102:103], s[26:27]
	v_mov_b32_e32 v199, v91
	v_pk_add_f32 v[166:167], v[206:207], v[252:253] neg_lo:[0,1] neg_hi:[0,1]
	v_mov_b32_e32 v223, v89
	v_pk_add_f32 v[88:89], v[226:227], v[142:143] neg_lo:[0,1] neg_hi:[0,1]
	v_pk_mul_f32 v[86:87], v[94:95], s[28:29]
	v_pk_add_f32 v[90:91], v[52:53], v[198:199]
	v_mov_b32_e32 v209, v167
	v_pk_add_f32 v[166:167], v[212:213], v[254:255] neg_lo:[0,1] neg_hi:[0,1]
	v_mov_b32_e32 v229, v89
	v_pk_add_f32 v[88:89], v[232:233], v[26:27] neg_lo:[0,1] neg_hi:[0,1]
	s_mov_b32 s76, s39
	v_pk_add_f32 v[90:91], v[208:209], v[90:91]
	v_mov_b32_e32 v211, v167
	v_pk_add_f32 v[86:87], v[214:215], v[86:87] neg_lo:[0,1] neg_hi:[0,1]
	v_mov_b32_e32 v231, v89
	s_mov_b32 s74, s61
	v_pk_mul_f32 v[88:89], v[136:137], s[76:77] op_sel_hi:[1,0]
	v_pk_add_f32 v[90:91], v[210:211], v[90:91]
	v_mov_b32_e32 v217, v87
	v_pk_fma_f32 v[170:171], v[134:135], s[74:75], v[88:89] op_sel:[0,0,1] op_sel_hi:[1,0,0]
	v_pk_fma_f32 v[172:173], v[134:135], s[74:75], v[88:89] op_sel:[0,0,1] op_sel_hi:[1,0,0] neg_lo:[0,0,1] neg_hi:[0,0,1]
	v_pk_mul_f32 v[176:177], v[132:133], s[72:73]
	v_pk_add_f32 v[86:87], v[216:217], v[90:91]
	v_mov_b32_e32 v88, v170
	v_mov_b32_e32 v89, v173
	v_pk_fma_f32 v[174:175], v[48:49], s[52:53], v[176:177]
	v_pk_fma_f32 v[90:91], v[48:49], s[52:53], v[176:177] neg_lo:[1,0,0] neg_hi:[1,0,0]
	v_pk_add_f32 v[88:89], v[52:53], v[88:89]
	v_mov_b32_e32 v90, v174
	v_pk_mul_f32 v[180:181], v[130:131], s[42:43]
	v_pk_add_f32 v[88:89], v[90:91], v[88:89]
	v_pk_fma_f32 v[178:179], v[92:93], s[26:27], v[180:181]
	v_pk_fma_f32 v[90:91], v[92:93], s[26:27], v[180:181] neg_lo:[1,0,0] neg_hi:[1,0,0]
	v_pk_mul_f32 v[184:185], v[128:129], s[62:63]
	v_mov_b32_e32 v90, v178
	v_pk_add_f32 v[88:89], v[90:91], v[88:89]
	v_pk_fma_f32 v[182:183], v[94:95], s[0:1], v[184:185]
	v_pk_fma_f32 v[90:91], v[94:95], s[0:1], v[184:185] neg_lo:[1,0,0] neg_hi:[1,0,0]
	v_pk_mul_f32 v[188:189], v[126:127], s[50:51]
	v_mov_b32_e32 v90, v182
	s_mov_b32 s63, 0x3f7ee86f
	v_pk_add_f32 v[88:89], v[90:91], v[88:89]
	v_pk_fma_f32 v[186:187], v[96:97], s[22:23], v[188:189]
	v_pk_fma_f32 v[90:91], v[96:97], s[22:23], v[188:189] neg_lo:[1,0,0] neg_hi:[1,0,0]
	s_mov_b32 s72, s63
	s_mov_b32 s73, s57
	v_mov_b32_e32 v90, v186
	s_mov_b32 s62, s57
	v_pk_mul_f32 v[192:193], v[124:125], s[72:73]
	v_pk_add_f32 v[88:89], v[90:91], v[88:89]
	v_pk_fma_f32 v[190:191], v[98:99], s[62:63], v[192:193]
	v_pk_fma_f32 v[90:91], v[98:99], s[62:63], v[192:193] neg_lo:[1,0,0] neg_hi:[1,0,0]
	v_pk_mul_f32 v[196:197], v[122:123], s[48:49]
	v_mov_b32_e32 v90, v190
	v_pk_add_f32 v[88:89], v[90:91], v[88:89]
	v_pk_fma_f32 v[194:195], v[100:101], s[24:25], v[196:197]
	v_pk_fma_f32 v[90:91], v[100:101], s[24:25], v[196:197] neg_lo:[1,0,0] neg_hi:[1,0,0]
	v_pk_add_f32 v[86:87], v[218:219], v[86:87]
	v_mov_b32_e32 v90, v194
	v_pk_mul_f32 v[2:3], v[120:121], s[34:35]
	v_pk_add_f32 v[86:87], v[222:223], v[86:87]
	v_pk_add_f32 v[88:89], v[90:91], v[88:89]
	v_pk_fma_f32 v[198:199], v[102:103], s[6:7], v[2:3]
	v_pk_fma_f32 v[90:91], v[102:103], s[6:7], v[2:3] neg_lo:[1,0,0] neg_hi:[1,0,0]
	v_pk_add_f32 v[86:87], v[228:229], v[86:87]
	v_mov_b32_e32 v90, v198
	v_pk_add_f32 v[86:87], v[230:231], v[86:87]
	v_pk_add_f32 v[88:89], v[90:91], v[88:89]
	ds_write2_b64 v81, v[86:87], v[88:89] offset0:4 offset1:5
	s_mov_b32 s74, s35
	v_pk_mul_f32 v[86:87], v[136:137], s[34:35] op_sel_hi:[1,0]
	v_pk_mul_f32 v[138:139], v[132:133], s[60:61]
	v_pk_fma_f32 v[88:89], v[134:135], s[74:75], v[86:87] op_sel:[0,0,1] op_sel_hi:[1,0,0]
	v_pk_fma_f32 v[86:87], v[134:135], s[74:75], v[86:87] op_sel:[0,0,1] op_sel_hi:[1,0,0] neg_lo:[0,0,1] neg_hi:[0,0,1]
	v_mov_b32_e32 v90, v88
	v_mov_b32_e32 v91, v87
	v_pk_fma_f32 v[142:143], v[48:49], s[16:17], v[138:139]
	v_pk_fma_f32 v[166:167], v[48:49], s[16:17], v[138:139] neg_lo:[1,0,0] neg_hi:[1,0,0]
	v_pk_add_f32 v[90:91], v[52:53], v[90:91]
	v_mov_b32_e32 v166, v142
	v_pk_add_f32 v[90:91], v[166:167], v[90:91]
	v_pk_mul_f32 v[166:167], v[130:131], s[48:49]
	s_mov_b32 s60, s47
	v_pk_fma_f32 v[36:37], v[92:93], s[24:25], v[166:167]
	v_pk_fma_f32 v[204:205], v[92:93], s[24:25], v[166:167] neg_lo:[1,0,0] neg_hi:[1,0,0]
	v_pk_mul_f32 v[230:231], v[132:133], s[68:69]
	v_mov_b32_e32 v204, v36
	v_pk_add_f32 v[90:91], v[204:205], v[90:91]
	v_pk_mul_f32 v[204:205], v[128:129], s[46:47]
	v_pk_fma_f32 v[232:233], v[48:49], s[58:59], v[230:231]
	v_pk_fma_f32 v[206:207], v[94:95], s[20:21], v[204:205]
	v_pk_fma_f32 v[208:209], v[94:95], s[20:21], v[204:205] neg_lo:[1,0,0] neg_hi:[1,0,0]
	v_pk_fma_f32 v[234:235], v[48:49], s[58:59], v[230:231] neg_lo:[1,0,0] neg_hi:[1,0,0]
	v_mov_b32_e32 v208, v206
	v_pk_add_f32 v[90:91], v[208:209], v[90:91]
	v_pk_mul_f32 v[208:209], v[126:127], s[72:73]
	v_mov_b32_e32 v234, v232
	v_pk_fma_f32 v[210:211], v[96:97], s[62:63], v[208:209]
	v_pk_fma_f32 v[212:213], v[96:97], s[62:63], v[208:209] neg_lo:[1,0,0] neg_hi:[1,0,0]
	v_pk_mul_f32 v[132:133], v[132:133], s[54:55]
	v_mov_b32_e32 v212, v210
	v_pk_add_f32 v[90:91], v[212:213], v[90:91]
	v_pk_mul_f32 v[212:213], v[124:125], s[70:71]
	v_accvgpr_write_b32 a23, v25
	v_pk_fma_f32 v[214:215], v[98:99], s[36:37], v[212:213]
	v_pk_fma_f32 v[216:217], v[98:99], s[36:37], v[212:213] neg_lo:[1,0,0] neg_hi:[1,0,0]
	v_accvgpr_write_b32 a8, v202
	v_mov_b32_e32 v216, v214
	v_pk_add_f32 v[90:91], v[216:217], v[90:91]
	v_pk_mul_f32 v[216:217], v[122:123], s[50:51]
	v_accvgpr_write_b32 a9, v203
	v_pk_fma_f32 v[218:219], v[100:101], s[22:23], v[216:217]
	v_pk_fma_f32 v[220:221], v[100:101], s[22:23], v[216:217] neg_lo:[1,0,0] neg_hi:[1,0,0]
	v_mov_b32_e32 v87, v89
	v_mov_b32_e32 v220, v218
	v_pk_add_f32 v[90:91], v[220:221], v[90:91]
	v_pk_mul_f32 v[220:221], v[120:121], s[68:69]
	v_mov_b32_e32 v173, v171
	v_pk_fma_f32 v[222:223], v[102:103], s[58:59], v[220:221]
	v_pk_fma_f32 v[224:225], v[102:103], s[58:59], v[220:221] neg_lo:[1,0,0] neg_hi:[1,0,0]
	v_pk_fma_f32 v[2:3], v[102:103], s[6:7], v[2:3] neg_lo:[0,0,1] neg_hi:[0,0,1]
	v_mov_b32_e32 v224, v222
	v_pk_add_f32 v[90:91], v[224:225], v[90:91]
	v_pk_mul_f32 v[224:225], v[136:137], s[46:47] op_sel_hi:[1,0]
	v_mov_b32_e32 v3, v199
	v_pk_fma_f32 v[226:227], v[134:135], s[60:61], v[224:225] op_sel:[0,0,1] op_sel_hi:[1,0,0]
	v_pk_fma_f32 v[224:225], v[134:135], s[60:61], v[224:225] op_sel:[0,0,1] op_sel_hi:[1,0,0] neg_lo:[0,0,1] neg_hi:[0,0,1]
	v_mov_b32_e32 v228, v226
	v_mov_b32_e32 v229, v225
	v_pk_add_f32 v[228:229], v[52:53], v[228:229]
	v_mov_b32_e32 v225, v227
	v_pk_add_f32 v[228:229], v[234:235], v[228:229]
	v_pk_mul_f32 v[234:235], v[130:131], s[56:57]
	v_pk_mul_f32 v[130:131], v[130:131], s[46:47]
	v_pk_fma_f32 v[236:237], v[92:93], s[18:19], v[234:235]
	v_pk_fma_f32 v[238:239], v[92:93], s[18:19], v[234:235] neg_lo:[1,0,0] neg_hi:[1,0,0]
	v_pk_fma_f32 v[24:25], v[92:93], s[20:21], v[130:131]
	v_mov_b32_e32 v238, v236
	v_pk_add_f32 v[228:229], v[238:239], v[228:229]
	v_pk_mul_f32 v[238:239], v[128:129], s[64:65]
	v_pk_mul_f32 v[128:129], v[128:129], s[42:43]
	v_pk_fma_f32 v[240:241], v[94:95], s[44:45], v[238:239]
	v_pk_fma_f32 v[242:243], v[94:95], s[44:45], v[238:239] neg_lo:[1,0,0] neg_hi:[1,0,0]
	v_mov_b32_e32 v141, v67
	v_mov_b32_e32 v242, v240
	v_pk_add_f32 v[228:229], v[242:243], v[228:229]
	v_pk_mul_f32 v[242:243], v[126:127], s[48:49]
	v_pk_mul_f32 v[126:127], v[126:127], s[34:35]
	v_pk_fma_f32 v[244:245], v[96:97], s[24:25], v[242:243]
	v_pk_fma_f32 v[246:247], v[96:97], s[24:25], v[242:243] neg_lo:[1,0,0] neg_hi:[1,0,0]
	v_pk_fma_f32 v[50:51], v[96:97], s[6:7], v[126:127]
	v_mov_b32_e32 v246, v244
	v_pk_add_f32 v[228:229], v[246:247], v[228:229]
	v_pk_mul_f32 v[246:247], v[124:125], s[50:51]
	v_pk_mul_f32 v[124:125], v[124:125], s[68:69]
	v_pk_fma_f32 v[248:249], v[98:99], s[22:23], v[246:247]
	v_pk_fma_f32 v[250:251], v[98:99], s[22:23], v[246:247] neg_lo:[1,0,0] neg_hi:[1,0,0]
	v_pk_fma_f32 v[0:1], v[98:99], s[58:59], v[124:125]
	v_mov_b32_e32 v250, v248
	v_pk_add_f32 v[228:229], v[250:251], v[228:229]
	v_pk_mul_f32 v[250:251], v[122:123], s[42:43]
	v_pk_mul_f32 v[122:123], v[122:123], s[66:67]
	v_pk_fma_f32 v[252:253], v[100:101], s[26:27], v[250:251]
	v_pk_fma_f32 v[254:255], v[100:101], s[26:27], v[250:251] neg_lo:[1,0,0] neg_hi:[1,0,0]
	v_accvgpr_read_b32 v39, a1
	v_mov_b32_e32 v254, v252
	v_pk_add_f32 v[228:229], v[254:255], v[228:229]
	v_pk_mul_f32 v[254:255], v[120:121], s[66:67]
	v_pk_mul_f32 v[120:121], v[120:121], s[72:73]
	v_pk_fma_f32 v[84:85], v[102:103], s[38:39], v[254:255]
	v_pk_fma_f32 v[82:83], v[102:103], s[38:39], v[254:255] neg_lo:[1,0,0] neg_hi:[1,0,0]
	v_pk_fma_f32 v[202:203], v[102:103], s[62:63], v[120:121]
	v_mov_b32_e32 v82, v84
	v_pk_add_f32 v[82:83], v[82:83], v[228:229]
	ds_write2_b64 v81, v[90:91], v[82:83] offset0:6 offset1:7
	v_pk_mul_f32 v[82:83], v[136:137], s[50:51] op_sel_hi:[1,0]
	v_pk_fma_f32 v[136:137], v[48:49], s[28:29], v[132:133]
	v_pk_fma_f32 v[90:91], v[134:135], s[40:41], v[82:83] op_sel:[0,0,1] op_sel_hi:[1,0,0]
	v_pk_fma_f32 v[82:83], v[134:135], s[40:41], v[82:83] op_sel:[0,0,1] op_sel_hi:[1,0,0] neg_lo:[0,0,1] neg_hi:[0,0,1]
	v_mov_b32_e32 v134, v90
	v_mov_b32_e32 v135, v83
	v_pk_fma_f32 v[228:229], v[48:49], s[28:29], v[132:133] neg_lo:[1,0,0] neg_hi:[1,0,0]
	v_pk_add_f32 v[134:135], v[52:53], v[134:135]
	v_mov_b32_e32 v228, v136
	v_pk_add_f32 v[134:135], v[228:229], v[134:135]
	v_pk_fma_f32 v[228:229], v[92:93], s[20:21], v[130:131] neg_lo:[1,0,0] neg_hi:[1,0,0]
	v_mov_b32_e32 v83, v91
	v_pk_fma_f32 v[90:91], v[48:49], s[28:29], v[132:133] neg_lo:[0,0,1] neg_hi:[0,0,1]
	v_mov_b32_e32 v228, v24
	v_pk_add_f32 v[82:83], v[52:53], v[82:83]
	v_mov_b32_e32 v91, v137
	v_pk_add_f32 v[26:27], v[228:229], v[134:135]
	v_pk_fma_f32 v[134:135], v[94:95], s[26:27], v[128:129]
	v_pk_fma_f32 v[228:229], v[94:95], s[26:27], v[128:129] neg_lo:[1,0,0] neg_hi:[1,0,0]
	v_pk_add_f32 v[82:83], v[90:91], v[82:83]
	v_pk_fma_f32 v[90:91], v[92:93], s[20:21], v[130:131] neg_lo:[0,0,1] neg_hi:[0,0,1]
	v_mov_b32_e32 v228, v134
	v_mov_b32_e32 v91, v25
	v_pk_add_f32 v[26:27], v[228:229], v[26:27]
	v_pk_fma_f32 v[228:229], v[96:97], s[6:7], v[126:127] neg_lo:[1,0,0] neg_hi:[1,0,0]
	v_pk_add_f32 v[24:25], v[90:91], v[82:83]
	v_pk_fma_f32 v[82:83], v[94:95], s[26:27], v[128:129] neg_lo:[0,0,1] neg_hi:[0,0,1]
	v_mov_b32_e32 v228, v50
	v_mov_b32_e32 v83, v135
	v_pk_add_f32 v[26:27], v[228:229], v[26:27]
	v_pk_fma_f32 v[228:229], v[98:99], s[58:59], v[124:125] neg_lo:[1,0,0] neg_hi:[1,0,0]
	v_pk_add_f32 v[24:25], v[82:83], v[24:25]
	v_pk_fma_f32 v[82:83], v[96:97], s[6:7], v[126:127] neg_lo:[0,0,1] neg_hi:[0,0,1]
	v_mov_b32_e32 v228, v0
	v_mov_b32_e32 v83, v51
	v_pk_fma_f32 v[50:51], v[98:99], s[58:59], v[124:125] neg_lo:[0,0,1] neg_hi:[0,0,1]
	v_pk_add_f32 v[26:27], v[228:229], v[26:27]
	v_mov_b32_e32 v0, v200
	v_pk_fma_f32 v[200:201], v[100:101], s[38:39], v[122:123]
	v_pk_fma_f32 v[228:229], v[100:101], s[38:39], v[122:123] neg_lo:[1,0,0] neg_hi:[1,0,0]
	v_pk_add_f32 v[24:25], v[82:83], v[24:25]
	v_mov_b32_e32 v51, v1
	v_mov_b32_e32 v228, v200
	;; [unrolled: 1-line block ×3, first 2 shown]
	v_pk_add_f32 v[0:1], v[50:51], v[24:25]
	v_pk_fma_f32 v[24:25], v[100:101], s[38:39], v[122:123] neg_lo:[0,0,1] neg_hi:[0,0,1]
	v_pk_add_f32 v[26:27], v[228:229], v[26:27]
	v_mov_b32_e32 v25, v201
	v_pk_fma_f32 v[228:229], v[102:103], s[62:63], v[120:121] neg_lo:[1,0,0] neg_hi:[1,0,0]
	v_pk_add_f32 v[0:1], v[24:25], v[0:1]
	v_pk_fma_f32 v[24:25], v[102:103], s[62:63], v[120:121] neg_lo:[0,0,1] neg_hi:[0,0,1]
	v_mov_b32_e32 v228, v202
	v_mov_b32_e32 v25, v203
	v_pk_add_f32 v[26:27], v[228:229], v[26:27]
	v_pk_add_f32 v[0:1], v[24:25], v[0:1]
	v_pk_fma_f32 v[24:25], v[48:49], s[58:59], v[230:231] neg_lo:[0,0,1] neg_hi:[0,0,1]
	ds_write2_b64 v81, v[26:27], v[0:1] offset0:8 offset1:9
	v_pk_add_f32 v[0:1], v[52:53], v[224:225]
	v_mov_b32_e32 v25, v233
	v_pk_add_f32 v[0:1], v[24:25], v[0:1]
	v_pk_fma_f32 v[24:25], v[92:93], s[18:19], v[234:235] neg_lo:[0,0,1] neg_hi:[0,0,1]
	v_pk_fma_f32 v[26:27], v[48:49], s[16:17], v[138:139] neg_lo:[0,0,1] neg_hi:[0,0,1]
	v_mov_b32_e32 v25, v237
	v_pk_add_f32 v[0:1], v[24:25], v[0:1]
	v_pk_fma_f32 v[24:25], v[94:95], s[44:45], v[238:239] neg_lo:[0,0,1] neg_hi:[0,0,1]
	v_mov_b32_e32 v27, v143
	v_mov_b32_e32 v25, v241
	v_pk_add_f32 v[0:1], v[24:25], v[0:1]
	v_pk_fma_f32 v[24:25], v[96:97], s[24:25], v[242:243] neg_lo:[0,0,1] neg_hi:[0,0,1]
	v_accvgpr_read_b32 v203, a9
	v_mov_b32_e32 v25, v245
	v_pk_add_f32 v[0:1], v[24:25], v[0:1]
	v_pk_fma_f32 v[24:25], v[98:99], s[22:23], v[246:247] neg_lo:[0,0,1] neg_hi:[0,0,1]
	v_accvgpr_read_b32 v247, a15
	;; [unrolled: 4-line block ×4, first 2 shown]
	v_mov_b32_e32 v25, v85
	v_pk_add_f32 v[0:1], v[24:25], v[0:1]
	v_pk_add_f32 v[24:25], v[52:53], v[86:87]
	v_accvgpr_read_b32 v246, a14
	v_pk_add_f32 v[24:25], v[26:27], v[24:25]
	v_pk_fma_f32 v[26:27], v[92:93], s[24:25], v[166:167] neg_lo:[0,0,1] neg_hi:[0,0,1]
	v_accvgpr_read_b32 v241, a7
	v_mov_b32_e32 v27, v37
	v_pk_add_f32 v[24:25], v[26:27], v[24:25]
	v_pk_fma_f32 v[26:27], v[94:95], s[20:21], v[204:205] neg_lo:[0,0,1] neg_hi:[0,0,1]
	v_accvgpr_read_b32 v245, a13
	v_mov_b32_e32 v27, v207
	;; [unrolled: 4-line block ×6, first 2 shown]
	v_pk_add_f32 v[24:25], v[26:27], v[24:25]
	ds_write2_b64 v81, v[0:1], v[24:25] offset0:10 offset1:11
	v_pk_fma_f32 v[24:25], v[48:49], s[52:53], v[176:177] neg_lo:[0,0,1] neg_hi:[0,0,1]
	v_pk_add_f32 v[0:1], v[52:53], v[172:173]
	v_mov_b32_e32 v25, v175
	v_pk_add_f32 v[0:1], v[24:25], v[0:1]
	v_pk_fma_f32 v[24:25], v[92:93], s[26:27], v[180:181] neg_lo:[0,0,1] neg_hi:[0,0,1]
	v_accvgpr_read_b32 v239, a5
	v_mov_b32_e32 v25, v179
	v_pk_add_f32 v[0:1], v[24:25], v[0:1]
	v_pk_fma_f32 v[24:25], v[94:95], s[0:1], v[184:185] neg_lo:[0,0,1] neg_hi:[0,0,1]
	v_accvgpr_read_b32 v238, a4
	;; [unrolled: 4-line block ×5, first 2 shown]
	v_mov_b32_e32 v25, v195
	v_pk_add_f32 v[0:1], v[24:25], v[0:1]
	s_nop 0
	v_pk_add_f32 v[0:1], v[2:3], v[0:1]
	v_pk_fma_f32 v[2:3], v[48:49], s[18:19], v[144:145] neg_lo:[0,0,1] neg_hi:[0,0,1]
	ds_write2_b64 v81, v[0:1], v[250:251] offset0:12 offset1:13
	v_pk_add_f32 v[0:1], v[52:53], v[140:141]
	v_mov_b32_e32 v3, v59
	v_pk_add_f32 v[0:1], v[2:3], v[0:1]
	v_pk_fma_f32 v[2:3], v[92:93], s[6:7], v[148:149] neg_lo:[0,0,1] neg_hi:[0,0,1]
	s_nop 0
	v_mov_b32_e32 v3, v147
	v_pk_add_f32 v[0:1], v[2:3], v[0:1]
	v_pk_fma_f32 v[2:3], v[94:95], s[22:23], v[152:153] neg_lo:[0,0,1] neg_hi:[0,0,1]
	s_nop 0
	;; [unrolled: 4-line block ×6, first 2 shown]
	v_mov_b32_e32 v3, v55
	v_pk_add_f32 v[0:1], v[2:3], v[0:1]
	v_pk_fma_f32 v[2:3], v[48:49], s[36:37], v[62:63] neg_lo:[0,0,1] neg_hi:[0,0,1]
	ds_write2_b64 v81, v[246:247], v[0:1] offset0:14 offset1:15
	v_pk_add_f32 v[0:1], v[52:53], v[38:39]
	v_accvgpr_read_b32 v3, a3
	v_pk_add_f32 v[0:1], v[2:3], v[0:1]
	v_pk_fma_f32 v[2:3], v[92:93], s[0:1], v[60:61] neg_lo:[0,0,1] neg_hi:[0,0,1]
	s_nop 0
	v_accvgpr_read_b32 v3, a19
	v_pk_add_f32 v[0:1], v[2:3], v[0:1]
	v_pk_fma_f32 v[2:3], v[94:95], s[18:19], v[64:65] neg_lo:[0,0,1] neg_hi:[0,0,1]
	s_nop 0
	;; [unrolled: 4-line block ×4, first 2 shown]
	v_mov_b32_e32 v3, v71
	v_pk_add_f32 v[0:1], v[2:3], v[0:1]
	v_pk_fma_f32 v[2:3], v[100:101], s[20:21], v[76:77] neg_lo:[0,0,1] neg_hi:[0,0,1]
	s_nop 0
	v_mov_b32_e32 v3, v75
	v_pk_add_f32 v[0:1], v[2:3], v[0:1]
	v_pk_fma_f32 v[2:3], v[102:103], s[22:23], v[56:57] neg_lo:[0,0,1] neg_hi:[0,0,1]
	s_nop 0
	v_mov_b32_e32 v3, v79
	v_pk_add_f32 v[0:1], v[2:3], v[0:1]
	ds_write_b64 v81, v[0:1] offset:128
.LBB0_17:
	s_or_b64 exec, exec, s[30:31]
	s_waitcnt lgkmcnt(0)
	; wave barrier
	s_waitcnt lgkmcnt(0)
	ds_read2_b64 v[64:67], v80 offset0:102 offset1:153
	v_add_u32_e32 v81, 0x800, v80
	ds_read2_b64 v[36:39], v80 offset1:51
	ds_read2_b64 v[68:71], v80 offset0:204 offset1:255
	v_mov_b32_e32 v0, v17
	ds_read2_b64 v[72:75], v81 offset0:50 offset1:101
	ds_read2_b64 v[76:79], v81 offset0:152 offset1:203
	s_waitcnt lgkmcnt(4)
	v_pk_mul_f32 v[2:3], v[16:17], v[66:67] op_sel:[0,1] op_sel_hi:[1,0]
	v_pk_mul_f32 v[0:1], v[0:1], v[66:67] op_sel:[0,1] op_sel_hi:[1,0]
	v_mov_b32_e32 v2, v3
	v_pk_fma_f32 v[0:1], v[16:17], v[66:67], v[0:1]
	v_pk_fma_f32 v[2:3], v[16:17], v[66:67], v[2:3] op_sel:[0,1,0] op_sel_hi:[1,0,1] neg_lo:[0,0,1] neg_hi:[0,0,1]
	v_add_u32_e32 v16, 0xc00, v80
	ds_read2_b64 v[92:95], v16 offset0:126 offset1:177
	ds_read_b64 v[16:17], v80 offset:4896
	s_waitcnt lgkmcnt(3)
	v_pk_mul_f32 v[4:5], v[4:5], v[74:75]
	v_pk_mul_f32 v[8:9], v[8:9], v[70:71]
	v_pk_fma_f32 v[82:83], v[114:115], v[74:75], v[4:5] op_sel:[0,0,1] op_sel_hi:[1,1,0]
	v_pk_fma_f32 v[74:75], v[114:115], v[74:75], v[4:5] op_sel:[0,0,1] op_sel_hi:[1,1,0] neg_lo:[0,0,1] neg_hi:[0,0,1]
	s_waitcnt lgkmcnt(2)
	v_pk_mul_f32 v[4:5], v[6:7], v[76:77]
	v_pk_mul_f32 v[24:25], v[202:203], v[68:69]
	v_pk_fma_f32 v[48:49], v[118:119], v[70:71], v[8:9] op_sel:[0,0,1] op_sel_hi:[1,1,0]
	v_pk_fma_f32 v[50:51], v[118:119], v[70:71], v[8:9] op_sel:[0,0,1] op_sel_hi:[1,1,0] neg_lo:[0,0,1] neg_hi:[0,0,1]
	v_pk_mul_f32 v[8:9], v[10:11], v[72:73]
	v_pk_fma_f32 v[10:11], v[112:113], v[76:77], v[4:5] op_sel:[0,0,1] op_sel_hi:[1,1,0]
	v_pk_fma_f32 v[62:63], v[112:113], v[76:77], v[4:5] op_sel:[0,0,1] op_sel_hi:[1,1,0] neg_lo:[0,0,1] neg_hi:[0,0,1]
	v_pk_mul_f32 v[4:5], v[20:21], v[78:79]
	v_pk_fma_f32 v[26:27], v[18:19], v[68:69], v[24:25] op_sel:[0,0,1] op_sel_hi:[1,1,0]
	v_pk_fma_f32 v[18:19], v[18:19], v[68:69], v[24:25] op_sel:[0,0,1] op_sel_hi:[1,1,0] neg_lo:[0,0,1] neg_hi:[0,0,1]
	v_pk_fma_f32 v[68:69], v[116:117], v[72:73], v[8:9] op_sel:[0,0,1] op_sel_hi:[1,1,0]
	v_pk_fma_f32 v[70:71], v[116:117], v[72:73], v[8:9] op_sel:[0,0,1] op_sel_hi:[1,1,0] neg_lo:[0,0,1] neg_hi:[0,0,1]
	v_pk_fma_f32 v[8:9], v[110:111], v[78:79], v[4:5] op_sel:[0,0,1] op_sel_hi:[1,1,0]
	v_pk_fma_f32 v[20:21], v[110:111], v[78:79], v[4:5] op_sel:[0,0,1] op_sel_hi:[1,1,0] neg_lo:[0,0,1] neg_hi:[0,0,1]
	s_waitcnt lgkmcnt(1)
	v_pk_mul_f32 v[4:5], v[22:23], v[92:93]
	s_mov_b32 s36, 0xbf7e222b
	v_pk_fma_f32 v[6:7], v[108:109], v[92:93], v[4:5] op_sel:[0,0,1] op_sel_hi:[1,1,0]
	v_pk_fma_f32 v[22:23], v[108:109], v[92:93], v[4:5] op_sel:[0,0,1] op_sel_hi:[1,1,0] neg_lo:[0,0,1] neg_hi:[0,0,1]
	v_pk_mul_f32 v[4:5], v[12:13], v[94:95]
	v_mov_b32_e32 v100, v0
	v_pk_fma_f32 v[98:99], v[106:107], v[94:95], v[4:5] op_sel:[0,0,1] op_sel_hi:[1,1,0]
	v_pk_fma_f32 v[4:5], v[106:107], v[94:95], v[4:5] op_sel:[0,0,1] op_sel_hi:[1,1,0] neg_lo:[0,0,1] neg_hi:[0,0,1]
	s_mov_b32 s37, 0x3df6dbef
	v_mov_b32_e32 v99, v5
	s_waitcnt lgkmcnt(0)
	v_pk_mul_f32 v[4:5], v[14:15], v[16:17]
	s_mov_b32 s0, s37
	v_pk_fma_f32 v[94:95], v[104:105], v[16:17], v[4:5] op_sel:[0,0,1] op_sel_hi:[1,1,0]
	v_pk_fma_f32 v[4:5], v[104:105], v[16:17], v[4:5] op_sel:[0,0,1] op_sel_hi:[1,1,0] neg_lo:[0,0,1] neg_hi:[0,0,1]
	s_mov_b32 s1, s36
	v_mov_b32_e32 v95, v5
	v_pk_add_f32 v[4:5], v[0:1], v[6:7]
	v_pk_add_f32 v[0:1], v[0:1], v[6:7] neg_lo:[0,1] neg_hi:[0,1]
	v_mov_b32_e32 v101, v2
	v_mov_b32_e32 v5, v0
	v_pk_add_f32 v[0:1], v[2:3], v[22:23] op_sel:[0,1] neg_lo:[0,1] neg_hi:[0,1]
	v_pk_add_f32 v[16:17], v[2:3], v[22:23] op_sel_hi:[0,1]
	v_pk_mul_f32 v[2:3], v[4:5], s[0:1]
	s_mov_b32 s22, 0xbf6f5d39
	v_mov_b32_e32 v92, v6
	v_mov_b32_e32 v93, v23
	;; [unrolled: 1-line block ×3, first 2 shown]
	v_pk_fma_f32 v[22:23], v[0:1], s[36:37], v[2:3] neg_lo:[1,0,0] neg_hi:[1,0,0]
	v_pk_add_f32 v[6:7], v[26:27], v[8:9]
	v_pk_add_f32 v[0:1], v[26:27], v[8:9] neg_lo:[0,1] neg_hi:[0,1]
	s_mov_b32 s23, 0xbeb58ec6
	v_mov_b32_e32 v7, v0
	s_mov_b32 s18, s23
	s_mov_b32 s19, s22
	v_mov_b32_e32 v25, v19
	v_pk_add_f32 v[0:1], v[18:19], v[20:21] neg_lo:[0,1] neg_hi:[0,1]
	v_pk_add_f32 v[18:19], v[18:19], v[20:21]
	v_pk_mul_f32 v[12:13], v[6:7], s[18:19]
	s_mov_b32 s28, 0xbf29c268
	v_mov_b32_e32 v24, v26
	v_mov_b32_e32 v96, v8
	;; [unrolled: 1-line block ×3, first 2 shown]
	v_pk_fma_f32 v[26:27], v[0:1], s[22:23], v[12:13] op_sel:[1,0,0] neg_lo:[1,0,0] neg_hi:[1,0,0]
	v_pk_add_f32 v[8:9], v[48:49], v[10:11]
	v_pk_add_f32 v[0:1], v[48:49], v[10:11] neg_lo:[0,1] neg_hi:[0,1]
	s_mov_b32 s29, 0xbf3f9e67
	v_mov_b32_e32 v9, v0
	s_mov_b32 s6, s29
	s_mov_b32 s7, s28
	v_mov_b32_e32 v91, v63
	v_pk_add_f32 v[0:1], v[50:51], v[62:63] neg_lo:[0,1] neg_hi:[0,1]
	v_pk_add_f32 v[62:63], v[50:51], v[62:63]
	v_pk_mul_f32 v[14:15], v[8:9], s[6:7]
	s_mov_b32 s26, 0xbe750f2a
	v_mov_b32_e32 v66, v48
	v_mov_b32_e32 v90, v10
	;; [unrolled: 1-line block ×3, first 2 shown]
	v_pk_fma_f32 v[48:49], v[0:1], s[28:29], v[14:15] op_sel:[1,0,0] neg_lo:[1,0,0] neg_hi:[1,0,0]
	v_pk_add_f32 v[10:11], v[68:69], v[82:83]
	v_pk_add_f32 v[0:1], v[68:69], v[82:83] neg_lo:[0,1] neg_hi:[0,1]
	s_mov_b32 s27, 0xbf788fa5
	v_mov_b32_e32 v11, v0
	s_mov_b32 s16, s27
	s_mov_b32 s17, s26
	v_mov_b32_e32 v73, v71
	v_mov_b32_e32 v97, v21
	v_pk_add_f32 v[0:1], v[70:71], v[74:75] neg_lo:[0,1] neg_hi:[0,1]
	v_pk_add_f32 v[70:71], v[70:71], v[74:75]
	v_pk_mul_f32 v[20:21], v[10:11], s[16:17]
	v_mov_b32_e32 v85, v75
	v_pk_fma_f32 v[102:103], v[16:17], s[36:37], v[2:3]
	v_mov_b32_e32 v70, v1
	v_pk_fma_f32 v[74:75], v[0:1], s[26:27], v[20:21] op_sel:[1,0,0] neg_lo:[1,0,0] neg_hi:[1,0,0]
	v_pk_fma_f32 v[0:1], v[16:17], s[36:37], v[2:3] neg_lo:[0,0,1] neg_hi:[0,0,1]
	v_mov_b32_e32 v23, v103
	v_pk_fma_f32 v[104:105], v[18:19], s[22:23], v[12:13]
	v_mov_b32_e32 v103, v1
	v_pk_fma_f32 v[0:1], v[18:19], s[22:23], v[12:13] neg_lo:[0,0,1] neg_hi:[0,0,1]
	v_mov_b32_e32 v67, v51
	v_mov_b32_e32 v27, v105
	v_pk_fma_f32 v[50:51], v[62:63], s[28:29], v[14:15]
	v_mov_b32_e32 v105, v1
	v_pk_fma_f32 v[0:1], v[62:63], s[28:29], v[14:15] neg_lo:[0,0,1] neg_hi:[0,0,1]
	v_mov_b32_e32 v84, v82
	;; [unrolled: 5-line block ×3, first 2 shown]
	v_mov_b32_e32 v83, v1
	v_pk_mul_f32 v[0:1], v[238:239], v[38:39] op_sel:[1,0]
	v_mov_b32_e32 v72, v68
	v_pk_fma_f32 v[2:3], v[238:239], v[38:39], v[0:1] op_sel:[0,0,1] op_sel_hi:[1,1,0]
	v_pk_fma_f32 v[0:1], v[238:239], v[38:39], v[0:1] op_sel:[0,0,1] op_sel_hi:[0,1,0] neg_lo:[0,0,1] neg_hi:[0,0,1]
	v_mov_b32_e32 v3, v1
	v_pk_mul_f32 v[0:1], v[240:241], v[64:65] op_sel:[1,0]
	v_pk_add_f32 v[38:39], v[36:37], v[2:3]
	v_pk_fma_f32 v[20:21], v[240:241], v[64:65], v[0:1] op_sel:[0,0,1] op_sel_hi:[1,1,0]
	v_pk_fma_f32 v[0:1], v[240:241], v[64:65], v[0:1] op_sel:[0,0,1] op_sel_hi:[0,1,0] neg_lo:[0,0,1] neg_hi:[0,0,1]
	v_mov_b32_e32 v21, v1
	v_pk_add_f32 v[86:87], v[20:21], v[98:99]
	v_pk_add_f32 v[88:89], v[20:21], v[98:99] neg_lo:[0,1] neg_hi:[0,1]
	v_pk_add_f32 v[20:21], v[38:39], v[20:21]
	v_pk_add_f32 v[78:79], v[2:3], v[94:95] neg_lo:[0,1] neg_hi:[0,1]
	v_pk_add_f32 v[20:21], v[20:21], v[100:101]
	s_mov_b32 s42, 0xbf52af12
	v_pk_add_f32 v[20:21], v[20:21], v[24:25]
	v_pk_add_f32 v[76:77], v[2:3], v[94:95]
	v_pk_add_f32 v[20:21], v[20:21], v[66:67]
	s_mov_b32 s20, 0x3f116cb1
	v_pk_add_f32 v[20:21], v[20:21], v[72:73]
	v_pk_mul_f32 v[0:1], v[78:79], s[42:43] op_sel_hi:[1,0]
	v_pk_add_f32 v[20:21], v[20:21], v[84:85]
	s_mov_b32 s38, 0xbeedf032
	v_pk_add_f32 v[20:21], v[20:21], v[90:91]
	v_pk_fma_f32 v[2:3], v[76:77], s[20:21], v[0:1] op_sel:[0,0,1] op_sel_hi:[1,0,0]
	v_pk_add_f32 v[20:21], v[20:21], v[96:97]
	v_pk_fma_f32 v[0:1], v[76:77], s[20:21], v[0:1] op_sel:[0,0,1] op_sel_hi:[1,0,0] neg_lo:[0,0,1] neg_hi:[0,0,1]
	v_pk_add_f32 v[20:21], v[20:21], v[92:93]
	s_mov_b32 s39, 0x3f62ad3f
	v_pk_add_f32 v[20:21], v[20:21], v[98:99]
	v_mov_b32_e32 v64, v2
	v_mov_b32_e32 v65, v1
	v_pk_add_f32 v[24:25], v[20:21], v[94:95]
	v_mov_b32_e32 v20, v76
	v_mov_b32_e32 v21, v78
	s_mov_b32 s24, s39
	s_mov_b32 s25, s38
	v_mov_b32_e32 v84, v79
	v_mov_b32_e32 v85, v77
	v_pk_mul_f32 v[90:91], v[20:21], s[24:25]
	v_pk_add_f32 v[38:39], v[36:37], v[64:65]
	v_mov_b32_e32 v64, v86
	v_mov_b32_e32 v65, v88
	s_mov_b32 s21, s42
	v_pk_fma_f32 v[20:21], v[84:85], s[38:39], v[90:91] neg_lo:[1,0,0] neg_hi:[1,0,0]
	v_pk_fma_f32 v[92:93], v[84:85], s[38:39], v[90:91]
	v_mov_b32_e32 v94, v89
	v_mov_b32_e32 v95, v87
	s_mov_b32 s43, s20
	v_pk_mul_f32 v[96:97], v[64:65], s[20:21]
	v_mov_b32_e32 v21, v93
	v_pk_fma_f32 v[64:65], v[94:95], s[42:43], v[96:97] neg_lo:[1,0,0] neg_hi:[1,0,0]
	v_pk_fma_f32 v[98:99], v[94:95], s[42:43], v[96:97]
	v_pk_add_f32 v[20:21], v[36:37], v[20:21]
	v_mov_b32_e32 v65, v99
	s_mov_b32 s44, s23
	v_pk_mul_f32 v[12:13], v[88:89], s[22:23] op_sel_hi:[1,0]
	v_pk_add_f32 v[20:21], v[64:65], v[20:21]
	v_pk_fma_f32 v[14:15], v[86:87], s[44:45], v[12:13] op_sel:[0,0,1] op_sel_hi:[1,0,0]
	v_pk_fma_f32 v[12:13], v[86:87], s[44:45], v[12:13] op_sel:[0,0,1] op_sel_hi:[1,0,0] neg_lo:[0,0,1] neg_hi:[0,0,1]
	v_pk_add_f32 v[64:65], v[22:23], v[20:21]
	v_pk_mul_f32 v[22:23], v[16:17], s[26:27]
	v_mov_b32_e32 v68, v14
	v_mov_b32_e32 v69, v13
	v_pk_fma_f32 v[20:21], v[4:5], s[16:17], v[22:23]
	v_pk_fma_f32 v[66:67], v[4:5], s[16:17], v[22:23] neg_lo:[1,0,0] neg_hi:[1,0,0]
	v_pk_add_f32 v[38:39], v[68:69], v[38:39]
	v_mov_b32_e32 v66, v20
	s_mov_b32 s52, 0x3f29c268
	s_mov_b32 s53, s29
	v_pk_add_f32 v[66:67], v[66:67], v[38:39]
	v_pk_mul_f32 v[38:39], v[18:19], s[52:53]
	s_mov_b32 s24, s29
	s_mov_b32 s25, s52
	v_pk_add_f32 v[26:27], v[26:27], v[64:65]
	v_pk_fma_f32 v[64:65], v[6:7], s[24:25], v[38:39]
	v_pk_fma_f32 v[68:69], v[6:7], s[24:25], v[38:39] neg_lo:[1,0,0] neg_hi:[1,0,0]
	s_mov_b32 s46, 0x3f7e222b
	v_mov_b32_e32 v68, v64
	s_mov_b32 s47, s37
	v_pk_add_f32 v[72:73], v[68:69], v[66:67]
	v_pk_mul_f32 v[66:67], v[62:63], s[46:47]
	s_mov_b32 s30, s37
	s_mov_b32 s31, s46
	v_pk_add_f32 v[26:27], v[48:49], v[26:27]
	v_pk_fma_f32 v[68:69], v[8:9], s[30:31], v[66:67]
	v_pk_fma_f32 v[48:49], v[8:9], s[30:31], v[66:67] neg_lo:[1,0,0] neg_hi:[1,0,0]
	s_mov_b32 s48, 0x3eedf032
	v_mov_b32_e32 v48, v68
	;; [unrolled: 10-line block ×3, first 2 shown]
	v_pk_add_f32 v[26:27], v[26:27], v[48:49]
	v_pk_fma_f32 v[48:49], v[84:85], s[38:39], v[90:91] neg_lo:[0,0,1] neg_hi:[0,0,1]
	v_pk_fma_f32 v[84:85], v[94:95], s[42:43], v[96:97] neg_lo:[0,0,1] neg_hi:[0,0,1]
	v_mov_b32_e32 v93, v49
	v_pk_add_f32 v[48:49], v[36:37], v[92:93]
	v_mov_b32_e32 v99, v85
	v_pk_add_f32 v[48:49], v[98:99], v[48:49]
	s_mov_b32 s50, 0x3f6f5d39
	v_pk_add_f32 v[48:49], v[102:103], v[48:49]
	s_mov_b32 s51, s23
	v_pk_add_f32 v[48:49], v[104:105], v[48:49]
	v_pk_mul_f32 v[104:105], v[78:79], s[36:37] op_sel_hi:[1,0]
	v_pk_add_f32 v[48:49], v[50:51], v[48:49]
	v_pk_fma_f32 v[106:107], v[76:77], s[54:55], v[104:105] op_sel:[0,0,1] op_sel_hi:[1,0,0]
	v_pk_add_f32 v[48:49], v[82:83], v[48:49]
	v_pk_fma_f32 v[104:105], v[76:77], s[54:55], v[104:105] op_sel:[0,0,1] op_sel_hi:[1,0,0] neg_lo:[0,0,1] neg_hi:[0,0,1]
	s_mov_b32 s38, s27
	v_pk_mul_f32 v[110:111], v[88:89], s[26:27] op_sel_hi:[1,0]
	s_waitcnt lgkmcnt(0)
	; wave barrier
	ds_write2_b64 v200, v[24:25], v[48:49] offset1:17
	v_pk_mul_f32 v[24:25], v[16:17], s[50:51]
	s_mov_b32 s40, s23
	s_mov_b32 s41, s50
	v_mov_b32_e32 v108, v106
	v_mov_b32_e32 v109, v105
	v_pk_fma_f32 v[112:113], v[86:87], s[38:39], v[110:111] op_sel:[0,0,1] op_sel_hi:[1,0,0]
	v_pk_fma_f32 v[110:111], v[86:87], s[38:39], v[110:111] op_sel:[0,0,1] op_sel_hi:[1,0,0] neg_lo:[0,0,1] neg_hi:[0,0,1]
	v_pk_fma_f32 v[48:49], v[4:5], s[40:41], v[24:25]
	v_pk_fma_f32 v[50:51], v[4:5], s[40:41], v[24:25] neg_lo:[1,0,0] neg_hi:[1,0,0]
	v_pk_mul_f32 v[82:83], v[18:19], s[48:49]
	v_mov_b32_e32 v114, v112
	v_mov_b32_e32 v115, v111
	v_pk_add_f32 v[108:109], v[36:37], v[108:109]
	v_mov_b32_e32 v50, v48
	v_pk_fma_f32 v[84:85], v[6:7], s[34:35], v[82:83]
	v_pk_fma_f32 v[90:91], v[6:7], s[34:35], v[82:83] neg_lo:[1,0,0] neg_hi:[1,0,0]
	v_pk_mul_f32 v[92:93], v[62:63], s[42:43]
	v_pk_add_f32 v[108:109], v[114:115], v[108:109]
	v_mov_b32_e32 v90, v84
	v_pk_fma_f32 v[94:95], v[8:9], s[20:21], v[92:93]
	v_pk_fma_f32 v[96:97], v[8:9], s[20:21], v[92:93] neg_lo:[1,0,0] neg_hi:[1,0,0]
	v_pk_mul_f32 v[98:99], v[70:71], s[28:29]
	v_pk_add_f32 v[50:51], v[50:51], v[108:109]
	v_mov_b32_e32 v96, v94
	v_pk_fma_f32 v[100:101], v[10:11], s[6:7], v[98:99]
	v_pk_fma_f32 v[102:103], v[10:11], s[6:7], v[98:99] neg_lo:[1,0,0] neg_hi:[1,0,0]
	v_pk_add_f32 v[50:51], v[90:91], v[50:51]
	v_mov_b32_e32 v102, v100
	v_pk_add_f32 v[50:51], v[96:97], v[50:51]
	v_pk_mul_f32 v[126:127], v[78:79], s[22:23] op_sel_hi:[1,0]
	v_pk_add_f32 v[50:51], v[102:103], v[50:51]
	v_pk_fma_f32 v[128:129], v[76:77], s[44:45], v[126:127] op_sel:[0,0,1] op_sel_hi:[1,0,0]
	v_pk_fma_f32 v[126:127], v[76:77], s[44:45], v[126:127] op_sel:[0,0,1] op_sel_hi:[1,0,0] neg_lo:[0,0,1] neg_hi:[0,0,1]
	s_mov_b32 s44, s29
	v_pk_mul_f32 v[132:133], v[88:89], s[52:53] op_sel_hi:[1,0]
	ds_write2_b64 v200, v[26:27], v[50:51] offset0:34 offset1:51
	v_pk_mul_f32 v[26:27], v[16:17], s[48:49]
	v_mov_b32_e32 v130, v128
	v_mov_b32_e32 v131, v127
	v_pk_fma_f32 v[134:135], v[86:87], s[44:45], v[132:133] op_sel:[0,0,1] op_sel_hi:[1,0,0]
	v_pk_fma_f32 v[132:133], v[86:87], s[44:45], v[132:133] op_sel:[0,0,1] op_sel_hi:[1,0,0] neg_lo:[0,0,1] neg_hi:[0,0,1]
	v_pk_fma_f32 v[50:51], v[4:5], s[34:35], v[26:27]
	v_pk_fma_f32 v[90:91], v[4:5], s[34:35], v[26:27] neg_lo:[1,0,0] neg_hi:[1,0,0]
	v_pk_mul_f32 v[96:97], v[18:19], s[36:37]
	s_mov_b32 s56, 0x3e750f2a
	s_mov_b32 s57, s27
	v_mov_b32_e32 v136, v134
	v_mov_b32_e32 v137, v133
	v_pk_add_f32 v[130:131], v[36:37], v[130:131]
	v_mov_b32_e32 v90, v50
	v_pk_fma_f32 v[102:103], v[6:7], s[0:1], v[96:97]
	v_pk_fma_f32 v[108:109], v[6:7], s[0:1], v[96:97] neg_lo:[1,0,0] neg_hi:[1,0,0]
	v_pk_mul_f32 v[114:115], v[62:63], s[56:57]
	s_mov_b32 s36, s27
	s_mov_b32 s37, s56
	;; [unrolled: 1-line block ×4, first 2 shown]
	v_pk_add_f32 v[130:131], v[136:137], v[130:131]
	v_mov_b32_e32 v108, v102
	v_pk_fma_f32 v[116:117], v[8:9], s[36:37], v[114:115]
	v_pk_fma_f32 v[118:119], v[8:9], s[36:37], v[114:115] neg_lo:[1,0,0] neg_hi:[1,0,0]
	v_pk_mul_f32 v[120:121], v[70:71], s[58:59]
	s_mov_b32 s50, s20
	s_mov_b32 s51, s58
	v_pk_add_f32 v[90:91], v[90:91], v[130:131]
	v_pk_mul_f32 v[152:153], v[78:79], s[28:29] op_sel_hi:[1,0]
	v_mov_b32_e32 v118, v116
	v_pk_fma_f32 v[122:123], v[10:11], s[50:51], v[120:121]
	v_pk_fma_f32 v[124:125], v[10:11], s[50:51], v[120:121] neg_lo:[1,0,0] neg_hi:[1,0,0]
	v_pk_add_f32 v[90:91], v[108:109], v[90:91]
	v_pk_fma_f32 v[154:155], v[76:77], s[44:45], v[152:153] op_sel:[0,0,1] op_sel_hi:[1,0,0]
	v_pk_fma_f32 v[152:153], v[76:77], s[44:45], v[152:153] op_sel:[0,0,1] op_sel_hi:[1,0,0] neg_lo:[0,0,1] neg_hi:[0,0,1]
	v_pk_mul_f32 v[158:159], v[88:89], s[46:47] op_sel_hi:[1,0]
	v_mov_b32_e32 v124, v122
	v_pk_add_f32 v[90:91], v[118:119], v[90:91]
	v_pk_mul_f32 v[108:109], v[16:17], s[42:43]
	v_mov_b32_e32 v156, v154
	v_mov_b32_e32 v157, v153
	v_pk_fma_f32 v[160:161], v[86:87], s[54:55], v[158:159] op_sel:[0,0,1] op_sel_hi:[1,0,0]
	v_pk_fma_f32 v[158:159], v[86:87], s[54:55], v[158:159] op_sel:[0,0,1] op_sel_hi:[1,0,0] neg_lo:[0,0,1] neg_hi:[0,0,1]
	v_pk_add_f32 v[90:91], v[124:125], v[90:91]
	v_pk_fma_f32 v[118:119], v[4:5], s[20:21], v[108:109]
	v_pk_fma_f32 v[124:125], v[4:5], s[20:21], v[108:109] neg_lo:[1,0,0] neg_hi:[1,0,0]
	v_pk_mul_f32 v[130:131], v[18:19], s[56:57]
	v_mov_b32_e32 v162, v160
	v_mov_b32_e32 v163, v159
	v_pk_add_f32 v[156:157], v[36:37], v[156:157]
	v_mov_b32_e32 v124, v118
	v_pk_fma_f32 v[136:137], v[6:7], s[36:37], v[130:131]
	v_pk_fma_f32 v[138:139], v[6:7], s[36:37], v[130:131] neg_lo:[1,0,0] neg_hi:[1,0,0]
	v_pk_mul_f32 v[140:141], v[62:63], s[48:49]
	v_pk_add_f32 v[156:157], v[162:163], v[156:157]
	v_mov_b32_e32 v138, v136
	v_pk_fma_f32 v[142:143], v[8:9], s[34:35], v[140:141]
	v_pk_fma_f32 v[144:145], v[8:9], s[34:35], v[140:141] neg_lo:[1,0,0] neg_hi:[1,0,0]
	v_pk_mul_f32 v[146:147], v[70:71], s[22:23]
	v_pk_add_f32 v[124:125], v[124:125], v[156:157]
	v_mov_b32_e32 v144, v142
	v_pk_fma_f32 v[148:149], v[10:11], s[18:19], v[146:147]
	v_pk_fma_f32 v[150:151], v[10:11], s[18:19], v[146:147] neg_lo:[1,0,0] neg_hi:[1,0,0]
	v_pk_add_f32 v[124:125], v[138:139], v[124:125]
	v_pk_mul_f32 v[78:79], v[78:79], s[26:27] op_sel_hi:[1,0]
	v_mov_b32_e32 v150, v148
	v_pk_add_f32 v[124:125], v[144:145], v[124:125]
	v_pk_mul_f32 v[62:63], v[62:63], s[22:23]
	v_pk_fma_f32 v[166:167], v[76:77], s[38:39], v[78:79] op_sel:[0,0,1] op_sel_hi:[1,0,0]
	v_pk_fma_f32 v[76:77], v[76:77], s[38:39], v[78:79] op_sel:[0,0,1] op_sel_hi:[1,0,0] neg_lo:[0,0,1] neg_hi:[0,0,1]
	s_mov_b32 s22, s39
	v_pk_mul_f32 v[88:89], v[88:89], s[48:49] op_sel_hi:[1,0]
	v_pk_add_f32 v[124:125], v[150:151], v[124:125]
	v_pk_mul_f32 v[16:17], v[16:17], s[28:29]
	v_mov_b32_e32 v78, v166
	v_mov_b32_e32 v79, v77
	v_pk_fma_f32 v[168:169], v[86:87], s[22:23], v[88:89] op_sel:[0,0,1] op_sel_hi:[1,0,0]
	v_pk_fma_f32 v[86:87], v[86:87], s[22:23], v[88:89] op_sel:[0,0,1] op_sel_hi:[1,0,0] neg_lo:[0,0,1] neg_hi:[0,0,1]
	v_mov_b32_e32 v77, v167
	ds_write2_b64 v200, v[90:91], v[124:125] offset0:68 offset1:85
	v_pk_fma_f32 v[90:91], v[4:5], s[6:7], v[16:17]
	v_pk_fma_f32 v[124:125], v[4:5], s[6:7], v[16:17] neg_lo:[1,0,0] neg_hi:[1,0,0]
	v_pk_mul_f32 v[18:19], v[18:19], s[58:59]
	v_mov_b32_e32 v88, v168
	v_mov_b32_e32 v89, v87
	v_pk_add_f32 v[78:79], v[36:37], v[78:79]
	v_pk_fma_f32 v[16:17], v[4:5], s[6:7], v[16:17] neg_lo:[0,0,1] neg_hi:[0,0,1]
	v_mov_b32_e32 v87, v169
	v_pk_add_f32 v[76:77], v[36:37], v[76:77]
	v_mov_b32_e32 v124, v90
	v_pk_fma_f32 v[138:139], v[6:7], s[50:51], v[18:19]
	v_pk_fma_f32 v[144:145], v[6:7], s[50:51], v[18:19] neg_lo:[1,0,0] neg_hi:[1,0,0]
	v_pk_add_f32 v[78:79], v[88:89], v[78:79]
	v_mov_b32_e32 v17, v91
	v_pk_fma_f32 v[18:19], v[6:7], s[50:51], v[18:19] neg_lo:[0,0,1] neg_hi:[0,0,1]
	v_pk_add_f32 v[76:77], v[86:87], v[76:77]
	v_mov_b32_e32 v144, v138
	v_pk_fma_f32 v[150:151], v[8:9], s[18:19], v[62:63]
	v_pk_fma_f32 v[156:157], v[8:9], s[18:19], v[62:63] neg_lo:[1,0,0] neg_hi:[1,0,0]
	v_pk_mul_f32 v[70:71], v[70:71], s[46:47]
	v_pk_add_f32 v[78:79], v[124:125], v[78:79]
	v_mov_b32_e32 v19, v139
	v_pk_fma_f32 v[62:63], v[8:9], s[18:19], v[62:63] neg_lo:[0,0,1] neg_hi:[0,0,1]
	v_pk_add_f32 v[16:17], v[16:17], v[76:77]
	v_mov_b32_e32 v156, v150
	v_pk_fma_f32 v[162:163], v[10:11], s[30:31], v[70:71]
	v_pk_fma_f32 v[164:165], v[10:11], s[30:31], v[70:71] neg_lo:[1,0,0] neg_hi:[1,0,0]
	v_pk_add_f32 v[78:79], v[144:145], v[78:79]
	v_mov_b32_e32 v63, v151
	v_pk_fma_f32 v[70:71], v[10:11], s[30:31], v[70:71] neg_lo:[0,0,1] neg_hi:[0,0,1]
	v_pk_add_f32 v[16:17], v[18:19], v[16:17]
	v_mov_b32_e32 v164, v162
	v_pk_add_f32 v[78:79], v[156:157], v[78:79]
	v_mov_b32_e32 v71, v163
	v_pk_add_f32 v[16:17], v[62:63], v[16:17]
	v_pk_add_f32 v[78:79], v[164:165], v[78:79]
	;; [unrolled: 1-line block ×3, first 2 shown]
	v_mov_b32_e32 v153, v155
	ds_write2_b64 v200, v[78:79], v[16:17] offset0:102 offset1:119
	v_pk_fma_f32 v[16:17], v[4:5], s[20:21], v[108:109] neg_lo:[0,0,1] neg_hi:[0,0,1]
	v_mov_b32_e32 v159, v161
	v_pk_add_f32 v[76:77], v[36:37], v[152:153]
	v_mov_b32_e32 v17, v119
	v_pk_fma_f32 v[18:19], v[6:7], s[36:37], v[130:131] neg_lo:[0,0,1] neg_hi:[0,0,1]
	v_pk_add_f32 v[76:77], v[158:159], v[76:77]
	v_mov_b32_e32 v19, v137
	v_pk_fma_f32 v[62:63], v[8:9], s[34:35], v[140:141] neg_lo:[0,0,1] neg_hi:[0,0,1]
	;; [unrolled: 3-line block ×3, first 2 shown]
	v_pk_add_f32 v[16:17], v[18:19], v[16:17]
	v_mov_b32_e32 v71, v149
	v_pk_add_f32 v[16:17], v[62:63], v[16:17]
	v_mov_b32_e32 v127, v129
	v_pk_add_f32 v[16:17], v[70:71], v[16:17]
	v_pk_fma_f32 v[18:19], v[4:5], s[34:35], v[26:27] neg_lo:[0,0,1] neg_hi:[0,0,1]
	v_mov_b32_e32 v133, v135
	v_pk_add_f32 v[70:71], v[36:37], v[126:127]
	v_mov_b32_e32 v19, v51
	v_pk_fma_f32 v[26:27], v[6:7], s[0:1], v[96:97] neg_lo:[0,0,1] neg_hi:[0,0,1]
	v_pk_add_f32 v[70:71], v[132:133], v[70:71]
	v_mov_b32_e32 v27, v103
	v_pk_fma_f32 v[50:51], v[8:9], s[36:37], v[114:115] neg_lo:[0,0,1] neg_hi:[0,0,1]
	;; [unrolled: 3-line block ×3, first 2 shown]
	v_pk_add_f32 v[18:19], v[26:27], v[18:19]
	v_mov_b32_e32 v1, v3
	v_mov_b32_e32 v63, v123
	v_pk_add_f32 v[18:19], v[50:51], v[18:19]
	v_mov_b32_e32 v13, v15
	v_pk_add_f32 v[0:1], v[36:37], v[0:1]
	v_pk_fma_f32 v[2:3], v[4:5], s[16:17], v[22:23] neg_lo:[0,0,1] neg_hi:[0,0,1]
	v_pk_add_f32 v[18:19], v[62:63], v[18:19]
	v_pk_add_f32 v[0:1], v[12:13], v[0:1]
	v_mov_b32_e32 v3, v21
	ds_write2_b64 v200, v[16:17], v[18:19] offset0:136 offset1:153
	v_pk_fma_f32 v[16:17], v[4:5], s[40:41], v[24:25] neg_lo:[0,0,1] neg_hi:[0,0,1]
	v_mov_b32_e32 v105, v107
	v_pk_add_f32 v[0:1], v[2:3], v[0:1]
	v_pk_fma_f32 v[2:3], v[6:7], s[24:25], v[38:39] neg_lo:[0,0,1] neg_hi:[0,0,1]
	v_mov_b32_e32 v17, v49
	v_mov_b32_e32 v111, v113
	v_pk_add_f32 v[48:49], v[36:37], v[104:105]
	v_mov_b32_e32 v3, v65
	v_pk_fma_f32 v[18:19], v[6:7], s[34:35], v[82:83] neg_lo:[0,0,1] neg_hi:[0,0,1]
	v_pk_add_f32 v[48:49], v[110:111], v[48:49]
	v_pk_add_f32 v[0:1], v[2:3], v[0:1]
	v_pk_fma_f32 v[2:3], v[8:9], s[30:31], v[66:67] neg_lo:[0,0,1] neg_hi:[0,0,1]
	v_mov_b32_e32 v19, v85
	v_pk_fma_f32 v[24:25], v[8:9], s[20:21], v[92:93] neg_lo:[0,0,1] neg_hi:[0,0,1]
	v_pk_add_f32 v[16:17], v[16:17], v[48:49]
	v_mov_b32_e32 v3, v69
	v_mov_b32_e32 v25, v95
	v_pk_fma_f32 v[26:27], v[10:11], s[6:7], v[98:99] neg_lo:[0,0,1] neg_hi:[0,0,1]
	v_pk_add_f32 v[16:17], v[18:19], v[16:17]
	v_pk_add_f32 v[0:1], v[2:3], v[0:1]
	v_pk_fma_f32 v[2:3], v[10:11], s[34:35], v[72:73] neg_lo:[0,0,1] neg_hi:[0,0,1]
	v_mov_b32_e32 v27, v101
	v_pk_add_f32 v[16:17], v[24:25], v[16:17]
	v_mov_b32_e32 v3, v75
	v_pk_add_f32 v[16:17], v[26:27], v[16:17]
	v_pk_add_f32 v[0:1], v[2:3], v[0:1]
	v_add_u32_e32 v39, 0x400, v80
	ds_write2_b64 v200, v[16:17], v[0:1] offset0:170 offset1:187
	ds_write_b64 v200, v[248:249] offset:1632
	s_waitcnt lgkmcnt(0)
	; wave barrier
	s_waitcnt lgkmcnt(0)
	ds_read2_b64 v[12:15], v80 offset1:51
	ds_read2_b64 v[20:23], v39 offset0:93 offset1:144
	ds_read2_b64 v[16:19], v81 offset0:186 offset1:237
	;; [unrolled: 1-line block ×4, first 2 shown]
	v_add_u32_e32 v38, 0x1000, v80
	ds_read2_b64 v[4:7], v38 offset0:32 offset1:83
	v_mov_b32_e32 v60, v32
	v_mov_b32_e32 v61, v32
	;; [unrolled: 1-line block ×18, first 2 shown]
	s_and_saveexec_b64 s[0:1], s[2:3]
	s_cbranch_execz .LBB0_19
; %bb.18:
	v_add_u32_e32 v24, 0x600, v80
	ds_read2_b64 v[248:251], v24 offset0:12 offset1:233
	ds_read_b64 v[246:247], v80 offset:5168
.LBB0_19:
	s_or_b64 exec, exec, s[0:1]
	s_waitcnt lgkmcnt(4)
	v_pk_mul_f32 v[24:25], v[32:33], v[20:21]
	s_waitcnt lgkmcnt(3)
	v_pk_mul_f32 v[26:27], v[34:35], v[16:17]
	v_pk_fma_f32 v[48:49], v[60:61], v[20:21], v[24:25] op_sel:[0,0,1] op_sel_hi:[1,1,0]
	v_pk_fma_f32 v[20:21], v[60:61], v[20:21], v[24:25] op_sel:[0,0,1] op_sel_hi:[1,1,0] neg_lo:[0,0,1] neg_hi:[0,0,1]
	s_mov_b32 s0, 0x3f5db3d7
	v_mov_b32_e32 v49, v21
	v_pk_fma_f32 v[20:21], v[58:59], v[16:17], v[26:27] op_sel:[0,0,1] op_sel_hi:[1,1,0]
	v_pk_fma_f32 v[16:17], v[58:59], v[16:17], v[26:27] op_sel:[0,0,1] op_sel_hi:[1,1,0] neg_lo:[0,0,1] neg_hi:[0,0,1]
	v_pk_mul_f32 v[32:33], v[40:41], v[22:23]
	v_mov_b32_e32 v21, v17
	v_pk_add_f32 v[16:17], v[12:13], v[48:49]
	v_pk_add_f32 v[24:25], v[48:49], v[20:21]
	;; [unrolled: 1-line block ×3, first 2 shown]
	v_pk_add_f32 v[20:21], v[48:49], v[20:21] neg_lo:[0,1] neg_hi:[0,1]
	v_pk_fma_f32 v[12:13], v[24:25], 0.5, v[12:13] op_sel_hi:[1,0,1] neg_lo:[1,0,0] neg_hi:[1,0,0]
	v_pk_mul_f32 v[20:21], v[20:21], s[0:1] op_sel_hi:[1,0]
	v_pk_mul_f32 v[34:35], v[42:43], v[18:19]
	v_pk_add_f32 v[24:25], v[12:13], v[20:21] op_sel:[0,1] op_sel_hi:[1,0] neg_lo:[0,1] neg_hi:[0,1]
	v_pk_add_f32 v[12:13], v[12:13], v[20:21] op_sel:[0,1] op_sel_hi:[1,0]
	v_mov_b32_e32 v20, v24
	v_mov_b32_e32 v21, v13
	;; [unrolled: 1-line block ×3, first 2 shown]
	v_pk_fma_f32 v[24:25], v[56:57], v[22:23], v[32:33] op_sel:[0,0,1] op_sel_hi:[1,1,0]
	v_pk_fma_f32 v[22:23], v[56:57], v[22:23], v[32:33] op_sel:[0,0,1] op_sel_hi:[1,1,0] neg_lo:[0,0,1] neg_hi:[0,0,1]
	s_waitcnt lgkmcnt(1)
	v_pk_mul_f32 v[40:41], v[44:45], v[8:9]
	v_mov_b32_e32 v25, v23
	v_pk_fma_f32 v[22:23], v[54:55], v[18:19], v[34:35] op_sel:[0,0,1] op_sel_hi:[1,1,0]
	v_pk_fma_f32 v[18:19], v[54:55], v[18:19], v[34:35] op_sel:[0,0,1] op_sel_hi:[1,1,0] neg_lo:[0,0,1] neg_hi:[0,0,1]
	s_waitcnt lgkmcnt(0)
	v_pk_mul_f32 v[42:43], v[46:47], v[4:5]
	v_mov_b32_e32 v23, v19
	v_pk_add_f32 v[18:19], v[14:15], v[24:25]
	v_pk_mul_f32 v[44:45], v[28:29], v[10:11] op_sel:[1,0]
	v_pk_add_f32 v[18:19], v[18:19], v[22:23]
	ds_write2_b64 v80, v[16:17], v[18:19] offset1:51
	v_pk_add_f32 v[16:17], v[24:25], v[22:23]
	v_pk_mul_f32 v[46:47], v[30:31], v[6:7] op_sel:[1,0]
	v_pk_fma_f32 v[14:15], v[16:17], 0.5, v[14:15] op_sel_hi:[1,0,1] neg_lo:[1,0,0] neg_hi:[1,0,0]
	v_pk_add_f32 v[16:17], v[24:25], v[22:23] neg_lo:[0,1] neg_hi:[0,1]
	s_nop 0
	v_pk_mul_f32 v[16:17], v[16:17], s[0:1] op_sel_hi:[1,0]
	s_nop 0
	v_pk_add_f32 v[18:19], v[14:15], v[16:17] op_sel:[0,1] op_sel_hi:[1,0] neg_lo:[0,1] neg_hi:[0,1]
	v_pk_add_f32 v[14:15], v[14:15], v[16:17] op_sel:[0,1] op_sel_hi:[1,0]
	v_mov_b32_e32 v16, v18
	v_mov_b32_e32 v17, v15
	;; [unrolled: 1-line block ×3, first 2 shown]
	ds_write2_b64 v81, v[12:13], v[14:15] offset0:186 offset1:237
	v_pk_fma_f32 v[12:13], v[52:53], v[8:9], v[40:41] op_sel:[0,0,1] op_sel_hi:[1,1,0]
	v_pk_fma_f32 v[8:9], v[52:53], v[8:9], v[40:41] op_sel:[0,0,1] op_sel_hi:[1,1,0] neg_lo:[0,0,1] neg_hi:[0,0,1]
	ds_write2_b64 v39, v[20:21], v[16:17] offset0:93 offset1:144
	v_mov_b32_e32 v13, v9
	v_pk_fma_f32 v[8:9], v[36:37], v[4:5], v[42:43] op_sel:[0,0,1] op_sel_hi:[1,1,0]
	v_pk_fma_f32 v[4:5], v[36:37], v[4:5], v[42:43] op_sel:[0,0,1] op_sel_hi:[1,1,0] neg_lo:[0,0,1] neg_hi:[0,0,1]
	s_nop 0
	v_mov_b32_e32 v9, v5
	v_pk_add_f32 v[4:5], v[0:1], v[12:13]
	v_pk_add_f32 v[14:15], v[12:13], v[8:9]
	;; [unrolled: 1-line block ×3, first 2 shown]
	v_pk_add_f32 v[8:9], v[12:13], v[8:9] neg_lo:[0,1] neg_hi:[0,1]
	v_pk_fma_f32 v[0:1], v[14:15], 0.5, v[0:1] op_sel_hi:[1,0,1] neg_lo:[1,0,0] neg_hi:[1,0,0]
	v_pk_mul_f32 v[8:9], v[8:9], s[0:1] op_sel_hi:[1,0]
	s_nop 0
	v_pk_add_f32 v[12:13], v[0:1], v[8:9] op_sel:[0,1] op_sel_hi:[1,0] neg_lo:[0,1] neg_hi:[0,1]
	v_pk_add_f32 v[0:1], v[0:1], v[8:9] op_sel:[0,1] op_sel_hi:[1,0]
	v_mov_b32_e32 v8, v12
	v_mov_b32_e32 v9, v1
	;; [unrolled: 1-line block ×3, first 2 shown]
	v_pk_fma_f32 v[12:13], v[28:29], v[10:11], v[44:45] op_sel:[0,0,1] op_sel_hi:[1,1,0]
	v_pk_fma_f32 v[10:11], v[28:29], v[10:11], v[44:45] op_sel:[0,0,1] op_sel_hi:[0,1,0] neg_lo:[0,0,1] neg_hi:[0,0,1]
	v_mov_b32_e32 v13, v11
	v_pk_fma_f32 v[10:11], v[30:31], v[6:7], v[46:47] op_sel:[0,0,1] op_sel_hi:[1,1,0]
	v_pk_fma_f32 v[6:7], v[30:31], v[6:7], v[46:47] op_sel:[0,0,1] op_sel_hi:[0,1,0] neg_lo:[0,0,1] neg_hi:[0,0,1]
	v_mov_b32_e32 v11, v7
	v_pk_add_f32 v[6:7], v[2:3], v[12:13]
	s_nop 0
	v_pk_add_f32 v[6:7], v[6:7], v[10:11]
	ds_write2_b64 v80, v[4:5], v[6:7] offset0:102 offset1:153
	v_pk_add_f32 v[4:5], v[12:13], v[10:11]
	s_nop 0
	v_pk_fma_f32 v[2:3], v[4:5], 0.5, v[2:3] op_sel_hi:[1,0,1] neg_lo:[1,0,0] neg_hi:[1,0,0]
	v_pk_add_f32 v[4:5], v[12:13], v[10:11] neg_lo:[0,1] neg_hi:[0,1]
	s_nop 0
	v_pk_mul_f32 v[4:5], v[4:5], s[0:1] op_sel_hi:[1,0]
	s_nop 0
	v_pk_add_f32 v[6:7], v[2:3], v[4:5] op_sel:[0,1] op_sel_hi:[1,0] neg_lo:[0,1] neg_hi:[0,1]
	v_pk_add_f32 v[2:3], v[2:3], v[4:5] op_sel:[0,1] op_sel_hi:[1,0]
	v_mov_b32_e32 v4, v6
	v_mov_b32_e32 v5, v3
	;; [unrolled: 1-line block ×3, first 2 shown]
	ds_write2_b64 v81, v[8:9], v[4:5] offset0:67 offset1:118
	ds_write2_b64 v38, v[0:1], v[2:3] offset0:32 offset1:83
	s_and_saveexec_b64 s[6:7], s[2:3]
	s_cbranch_execz .LBB0_21
; %bb.20:
	v_pk_mul_f32 v[0:1], v[242:243], v[250:251] op_sel:[0,1]
	v_pk_mul_f32 v[2:3], v[244:245], v[246:247] op_sel:[0,1]
	v_pk_fma_f32 v[4:5], v[242:243], v[250:251], v[0:1] op_sel:[0,0,1] op_sel_hi:[1,1,0]
	v_pk_fma_f32 v[0:1], v[242:243], v[250:251], v[0:1] op_sel:[0,0,1] op_sel_hi:[1,0,0] neg_lo:[1,0,0] neg_hi:[1,0,0]
	s_nop 0
	v_mov_b32_e32 v5, v1
	v_pk_fma_f32 v[0:1], v[244:245], v[246:247], v[2:3] op_sel:[0,0,1] op_sel_hi:[1,1,0]
	v_pk_fma_f32 v[2:3], v[244:245], v[246:247], v[2:3] op_sel:[0,0,1] op_sel_hi:[1,0,0] neg_lo:[1,0,0] neg_hi:[1,0,0]
	s_nop 0
	v_mov_b32_e32 v1, v3
	v_pk_add_f32 v[2:3], v[248:249], v[4:5]
	v_pk_add_f32 v[6:7], v[4:5], v[0:1]
	;; [unrolled: 1-line block ×3, first 2 shown]
	v_pk_add_f32 v[0:1], v[4:5], v[0:1] neg_lo:[0,1] neg_hi:[0,1]
	v_pk_fma_f32 v[6:7], -0.5, v[6:7], v[248:249] op_sel_hi:[0,1,1]
	v_pk_mul_f32 v[0:1], v[0:1], s[0:1] op_sel_hi:[1,0]
	s_nop 0
	v_pk_add_f32 v[4:5], v[6:7], v[0:1] op_sel:[0,1] op_sel_hi:[1,0] neg_lo:[0,1] neg_hi:[0,1]
	v_pk_add_f32 v[0:1], v[6:7], v[0:1] op_sel:[0,1] op_sel_hi:[1,0]
	v_mov_b32_e32 v6, v4
	v_mov_b32_e32 v7, v1
	v_add_u32_e32 v1, 0x600, v80
	ds_write2_b64 v1, v[2:3], v[6:7] offset0:12 offset1:233
	v_mov_b32_e32 v1, v5
	ds_write_b64 v80, v[0:1] offset:5168
.LBB0_21:
	s_or_b64 exec, exec, s[6:7]
	s_waitcnt lgkmcnt(0)
	; wave barrier
	s_waitcnt lgkmcnt(0)
	s_and_b64 exec, exec, s[4:5]
	s_cbranch_execz .LBB0_23
; %bb.22:
	global_load_dwordx2 v[0:1], v80, s[12:13]
	ds_read_b64 v[2:3], v80
	v_mad_u64_u32 v[6:7], s[0:1], s10, v236, 0
	v_mov_b32_e32 v10, v7
	v_mad_u64_u32 v[10:11], s[2:3], s11, v236, v[10:11]
	v_mov_b32_e32 v4, s14
	v_mov_b32_e32 v5, s15
	;; [unrolled: 1-line block ×3, first 2 shown]
	v_mad_u64_u32 v[8:9], s[2:3], s8, v234, 0
	v_lshl_add_u64 v[4:5], v[6:7], 3, v[4:5]
	s_mov_b32 s0, 0x18b64019
	v_mov_b32_e32 v12, v9
	s_mov_b32 s1, 0x3f58b640
	v_mad_u64_u32 v[12:13], s[2:3], s9, v234, v[12:13]
	v_mov_b32_e32 v9, v12
	v_lshl_add_u64 v[4:5], v[8:9], 3, v[4:5]
	v_mov_b32_e32 v10, 0x138
	s_mul_i32 s2, s9, 0x138
	v_mov_b32_e32 v81, 0
	s_movk_i32 s3, 0x1000
	s_waitcnt vmcnt(0) lgkmcnt(0)
	v_mul_f32_e32 v6, v3, v1
	v_mul_f32_e32 v1, v2, v1
	v_fmac_f32_e32 v6, v2, v0
	v_fma_f32 v2, v0, v3, -v1
	v_cvt_f64_f32_e32 v[0:1], v6
	v_cvt_f64_f32_e32 v[2:3], v2
	v_mul_f64 v[0:1], v[0:1], s[0:1]
	v_mul_f64 v[2:3], v[2:3], s[0:1]
	v_cvt_f32_f64_e32 v0, v[0:1]
	v_cvt_f32_f64_e32 v1, v[2:3]
	global_store_dwordx2 v[4:5], v[0:1], off
	global_load_dwordx2 v[6:7], v80, s[12:13] offset:312
	ds_read2_b64 v[0:3], v80 offset0:39 offset1:78
	v_mad_u64_u32 v[4:5], s[4:5], s8, v10, v[4:5]
	v_add_u32_e32 v5, s2, v5
	s_waitcnt vmcnt(0) lgkmcnt(0)
	v_mul_f32_e32 v8, v1, v7
	v_mul_f32_e32 v7, v0, v7
	v_fmac_f32_e32 v8, v0, v6
	v_fma_f32 v6, v6, v1, -v7
	v_cvt_f64_f32_e32 v[0:1], v8
	v_cvt_f64_f32_e32 v[6:7], v6
	v_mul_f64 v[0:1], v[0:1], s[0:1]
	v_mul_f64 v[6:7], v[6:7], s[0:1]
	v_cvt_f32_f64_e32 v0, v[0:1]
	v_cvt_f32_f64_e32 v1, v[6:7]
	global_store_dwordx2 v[4:5], v[0:1], off
	global_load_dwordx2 v[0:1], v80, s[12:13] offset:624
	v_mad_u64_u32 v[4:5], s[4:5], s8, v10, v[4:5]
	v_add_u32_e32 v5, s2, v5
	s_waitcnt vmcnt(0)
	v_mul_f32_e32 v6, v3, v1
	v_mul_f32_e32 v1, v2, v1
	v_fmac_f32_e32 v6, v2, v0
	v_fma_f32 v2, v0, v3, -v1
	v_cvt_f64_f32_e32 v[0:1], v6
	v_cvt_f64_f32_e32 v[2:3], v2
	v_mul_f64 v[0:1], v[0:1], s[0:1]
	v_mul_f64 v[2:3], v[2:3], s[0:1]
	v_cvt_f32_f64_e32 v0, v[0:1]
	v_cvt_f32_f64_e32 v1, v[2:3]
	global_store_dwordx2 v[4:5], v[0:1], off
	global_load_dwordx2 v[6:7], v80, s[12:13] offset:936
	ds_read2_b64 v[0:3], v80 offset0:117 offset1:156
	v_mad_u64_u32 v[4:5], s[4:5], s8, v10, v[4:5]
	v_add_u32_e32 v5, s2, v5
	s_waitcnt vmcnt(0) lgkmcnt(0)
	v_mul_f32_e32 v8, v1, v7
	v_mul_f32_e32 v7, v0, v7
	v_fmac_f32_e32 v8, v0, v6
	v_fma_f32 v6, v6, v1, -v7
	v_cvt_f64_f32_e32 v[0:1], v8
	v_cvt_f64_f32_e32 v[6:7], v6
	v_mul_f64 v[0:1], v[0:1], s[0:1]
	v_mul_f64 v[6:7], v[6:7], s[0:1]
	v_cvt_f32_f64_e32 v0, v[0:1]
	v_cvt_f32_f64_e32 v1, v[6:7]
	global_store_dwordx2 v[4:5], v[0:1], off
	global_load_dwordx2 v[0:1], v80, s[12:13] offset:1248
	v_mad_u64_u32 v[4:5], s[4:5], s8, v10, v[4:5]
	v_add_u32_e32 v5, s2, v5
	s_waitcnt vmcnt(0)
	v_mul_f32_e32 v6, v3, v1
	v_mul_f32_e32 v1, v2, v1
	v_fmac_f32_e32 v6, v2, v0
	v_fma_f32 v2, v0, v3, -v1
	v_cvt_f64_f32_e32 v[0:1], v6
	v_cvt_f64_f32_e32 v[2:3], v2
	v_mul_f64 v[0:1], v[0:1], s[0:1]
	v_mul_f64 v[2:3], v[2:3], s[0:1]
	v_cvt_f32_f64_e32 v0, v[0:1]
	v_cvt_f32_f64_e32 v1, v[2:3]
	global_store_dwordx2 v[4:5], v[0:1], off
	global_load_dwordx2 v[6:7], v80, s[12:13] offset:1560
	ds_read2_b64 v[0:3], v80 offset0:195 offset1:234
	v_mad_u64_u32 v[4:5], s[4:5], s8, v10, v[4:5]
	v_add_u32_e32 v5, s2, v5
	s_waitcnt vmcnt(0) lgkmcnt(0)
	v_mul_f32_e32 v8, v1, v7
	v_mul_f32_e32 v7, v0, v7
	v_fmac_f32_e32 v8, v0, v6
	v_fma_f32 v6, v6, v1, -v7
	v_cvt_f64_f32_e32 v[0:1], v8
	v_cvt_f64_f32_e32 v[6:7], v6
	v_mul_f64 v[0:1], v[0:1], s[0:1]
	v_mul_f64 v[6:7], v[6:7], s[0:1]
	v_cvt_f32_f64_e32 v0, v[0:1]
	v_cvt_f32_f64_e32 v1, v[6:7]
	global_store_dwordx2 v[4:5], v[0:1], off
	global_load_dwordx2 v[0:1], v80, s[12:13] offset:1872
	v_mad_u64_u32 v[4:5], s[4:5], s8, v10, v[4:5]
	v_add_u32_e32 v5, s2, v5
	v_add_u32_e32 v8, 0x800, v80
	s_waitcnt vmcnt(0)
	v_mul_f32_e32 v6, v3, v1
	v_mul_f32_e32 v1, v2, v1
	v_fmac_f32_e32 v6, v2, v0
	v_fma_f32 v2, v0, v3, -v1
	v_cvt_f64_f32_e32 v[0:1], v6
	v_cvt_f64_f32_e32 v[2:3], v2
	v_mul_f64 v[0:1], v[0:1], s[0:1]
	v_mul_f64 v[2:3], v[2:3], s[0:1]
	v_cvt_f32_f64_e32 v0, v[0:1]
	v_cvt_f32_f64_e32 v1, v[2:3]
	global_store_dwordx2 v[4:5], v[0:1], off
	global_load_dwordx2 v[6:7], v80, s[12:13] offset:2184
	ds_read2_b64 v[0:3], v8 offset0:17 offset1:56
	v_mad_u64_u32 v[4:5], s[4:5], s8, v10, v[4:5]
	v_add_u32_e32 v5, s2, v5
	s_waitcnt vmcnt(0) lgkmcnt(0)
	v_mul_f32_e32 v9, v1, v7
	v_mul_f32_e32 v7, v0, v7
	v_fmac_f32_e32 v9, v0, v6
	v_fma_f32 v6, v6, v1, -v7
	v_cvt_f64_f32_e32 v[0:1], v9
	v_cvt_f64_f32_e32 v[6:7], v6
	v_mul_f64 v[0:1], v[0:1], s[0:1]
	v_mul_f64 v[6:7], v[6:7], s[0:1]
	v_cvt_f32_f64_e32 v0, v[0:1]
	v_cvt_f32_f64_e32 v1, v[6:7]
	global_store_dwordx2 v[4:5], v[0:1], off
	global_load_dwordx2 v[0:1], v80, s[12:13] offset:2496
	v_mad_u64_u32 v[4:5], s[4:5], s8, v10, v[4:5]
	v_add_u32_e32 v5, s2, v5
	s_waitcnt vmcnt(0)
	v_mul_f32_e32 v6, v3, v1
	v_mul_f32_e32 v1, v2, v1
	v_fmac_f32_e32 v6, v2, v0
	v_fma_f32 v2, v0, v3, -v1
	v_cvt_f64_f32_e32 v[0:1], v6
	v_cvt_f64_f32_e32 v[2:3], v2
	v_mul_f64 v[0:1], v[0:1], s[0:1]
	v_mul_f64 v[2:3], v[2:3], s[0:1]
	v_cvt_f32_f64_e32 v0, v[0:1]
	v_cvt_f32_f64_e32 v1, v[2:3]
	global_store_dwordx2 v[4:5], v[0:1], off
	global_load_dwordx2 v[6:7], v80, s[12:13] offset:2808
	ds_read2_b64 v[0:3], v8 offset0:95 offset1:134
	v_mad_u64_u32 v[4:5], s[4:5], s8, v10, v[4:5]
	v_add_u32_e32 v5, s2, v5
	s_waitcnt vmcnt(0) lgkmcnt(0)
	v_mul_f32_e32 v9, v1, v7
	v_mul_f32_e32 v7, v0, v7
	v_fmac_f32_e32 v9, v0, v6
	v_fma_f32 v6, v6, v1, -v7
	v_cvt_f64_f32_e32 v[0:1], v9
	v_cvt_f64_f32_e32 v[6:7], v6
	v_mul_f64 v[0:1], v[0:1], s[0:1]
	v_mul_f64 v[6:7], v[6:7], s[0:1]
	v_cvt_f32_f64_e32 v0, v[0:1]
	v_cvt_f32_f64_e32 v1, v[6:7]
	global_store_dwordx2 v[4:5], v[0:1], off
	global_load_dwordx2 v[0:1], v80, s[12:13] offset:3120
	v_mad_u64_u32 v[4:5], s[4:5], s8, v10, v[4:5]
	;; [unrolled: 31-line block ×3, first 2 shown]
	v_add_u32_e32 v5, s2, v5
	v_lshl_add_u64 v[8:9], s[12:13], 0, v[80:81]
	v_add_co_u32_e32 v8, vcc, s3, v8
	s_waitcnt vmcnt(0)
	v_mul_f32_e32 v6, v3, v1
	v_mul_f32_e32 v1, v2, v1
	v_fmac_f32_e32 v6, v2, v0
	v_fma_f32 v2, v0, v3, -v1
	v_cvt_f64_f32_e32 v[0:1], v6
	v_cvt_f64_f32_e32 v[2:3], v2
	v_mul_f64 v[0:1], v[0:1], s[0:1]
	v_mul_f64 v[2:3], v[2:3], s[0:1]
	v_cvt_f32_f64_e32 v0, v[0:1]
	v_cvt_f32_f64_e32 v1, v[2:3]
	global_store_dwordx2 v[4:5], v[0:1], off
	global_load_dwordx2 v[6:7], v80, s[12:13] offset:4056
	v_add_u32_e32 v0, 0xc00, v80
	ds_read2_b64 v[0:3], v0 offset0:123 offset1:162
	v_mad_u64_u32 v[4:5], s[4:5], s8, v10, v[4:5]
	v_add_u32_e32 v5, s2, v5
	v_addc_co_u32_e32 v9, vcc, 0, v9, vcc
	s_waitcnt vmcnt(0) lgkmcnt(0)
	v_mul_f32_e32 v11, v1, v7
	v_mul_f32_e32 v7, v0, v7
	v_fmac_f32_e32 v11, v0, v6
	v_fma_f32 v6, v6, v1, -v7
	v_cvt_f64_f32_e32 v[0:1], v11
	v_cvt_f64_f32_e32 v[6:7], v6
	v_mul_f64 v[0:1], v[0:1], s[0:1]
	v_mul_f64 v[6:7], v[6:7], s[0:1]
	v_cvt_f32_f64_e32 v0, v[0:1]
	v_cvt_f32_f64_e32 v1, v[6:7]
	global_store_dwordx2 v[4:5], v[0:1], off
	global_load_dwordx2 v[0:1], v[8:9], off offset:272
	v_mad_u64_u32 v[4:5], s[4:5], s8, v10, v[4:5]
	v_add_u32_e32 v5, s2, v5
	s_waitcnt vmcnt(0)
	v_mul_f32_e32 v6, v3, v1
	v_mul_f32_e32 v1, v2, v1
	v_fmac_f32_e32 v6, v2, v0
	v_fma_f32 v2, v0, v3, -v1
	v_cvt_f64_f32_e32 v[0:1], v6
	v_cvt_f64_f32_e32 v[2:3], v2
	v_mul_f64 v[0:1], v[0:1], s[0:1]
	v_mul_f64 v[2:3], v[2:3], s[0:1]
	v_cvt_f32_f64_e32 v0, v[0:1]
	v_cvt_f32_f64_e32 v1, v[2:3]
	global_store_dwordx2 v[4:5], v[0:1], off
	global_load_dwordx2 v[6:7], v[8:9], off offset:584
	v_add_u32_e32 v0, 0x1000, v80
	ds_read2_b64 v[0:3], v0 offset0:73 offset1:112
	v_mad_u64_u32 v[4:5], s[4:5], s8, v10, v[4:5]
	v_add_u32_e32 v5, s2, v5
	s_waitcnt vmcnt(0) lgkmcnt(0)
	v_mul_f32_e32 v11, v1, v7
	v_mul_f32_e32 v7, v0, v7
	v_fmac_f32_e32 v11, v0, v6
	v_fma_f32 v6, v6, v1, -v7
	v_cvt_f64_f32_e32 v[0:1], v11
	v_cvt_f64_f32_e32 v[6:7], v6
	v_mul_f64 v[0:1], v[0:1], s[0:1]
	v_mul_f64 v[6:7], v[6:7], s[0:1]
	v_cvt_f32_f64_e32 v0, v[0:1]
	v_cvt_f32_f64_e32 v1, v[6:7]
	global_store_dwordx2 v[4:5], v[0:1], off
	global_load_dwordx2 v[0:1], v[8:9], off offset:896
	v_mad_u64_u32 v[4:5], s[4:5], s8, v10, v[4:5]
	v_add_u32_e32 v5, s2, v5
	s_waitcnt vmcnt(0)
	v_mul_f32_e32 v6, v3, v1
	v_mul_f32_e32 v1, v2, v1
	v_fmac_f32_e32 v6, v2, v0
	v_fma_f32 v2, v0, v3, -v1
	v_cvt_f64_f32_e32 v[0:1], v6
	v_cvt_f64_f32_e32 v[2:3], v2
	v_mul_f64 v[0:1], v[0:1], s[0:1]
	v_mul_f64 v[2:3], v[2:3], s[0:1]
	v_cvt_f32_f64_e32 v0, v[0:1]
	v_cvt_f32_f64_e32 v1, v[2:3]
	global_store_dwordx2 v[4:5], v[0:1], off
.LBB0_23:
	s_endpgm
	.section	.rodata,"a",@progbits
	.p2align	6, 0x0
	.amdhsa_kernel bluestein_single_fwd_len663_dim1_sp_op_CI_CI
		.amdhsa_group_segment_fixed_size 5304
		.amdhsa_private_segment_fixed_size 0
		.amdhsa_kernarg_size 104
		.amdhsa_user_sgpr_count 2
		.amdhsa_user_sgpr_dispatch_ptr 0
		.amdhsa_user_sgpr_queue_ptr 0
		.amdhsa_user_sgpr_kernarg_segment_ptr 1
		.amdhsa_user_sgpr_dispatch_id 0
		.amdhsa_user_sgpr_kernarg_preload_length 0
		.amdhsa_user_sgpr_kernarg_preload_offset 0
		.amdhsa_user_sgpr_private_segment_size 0
		.amdhsa_uses_dynamic_stack 0
		.amdhsa_enable_private_segment 0
		.amdhsa_system_sgpr_workgroup_id_x 1
		.amdhsa_system_sgpr_workgroup_id_y 0
		.amdhsa_system_sgpr_workgroup_id_z 0
		.amdhsa_system_sgpr_workgroup_info 0
		.amdhsa_system_vgpr_workitem_id 0
		.amdhsa_next_free_vgpr 280
		.amdhsa_next_free_sgpr 78
		.amdhsa_accum_offset 256
		.amdhsa_reserve_vcc 1
		.amdhsa_float_round_mode_32 0
		.amdhsa_float_round_mode_16_64 0
		.amdhsa_float_denorm_mode_32 3
		.amdhsa_float_denorm_mode_16_64 3
		.amdhsa_dx10_clamp 1
		.amdhsa_ieee_mode 1
		.amdhsa_fp16_overflow 0
		.amdhsa_tg_split 0
		.amdhsa_exception_fp_ieee_invalid_op 0
		.amdhsa_exception_fp_denorm_src 0
		.amdhsa_exception_fp_ieee_div_zero 0
		.amdhsa_exception_fp_ieee_overflow 0
		.amdhsa_exception_fp_ieee_underflow 0
		.amdhsa_exception_fp_ieee_inexact 0
		.amdhsa_exception_int_div_zero 0
	.end_amdhsa_kernel
	.text
.Lfunc_end0:
	.size	bluestein_single_fwd_len663_dim1_sp_op_CI_CI, .Lfunc_end0-bluestein_single_fwd_len663_dim1_sp_op_CI_CI
                                        ; -- End function
	.section	.AMDGPU.csdata,"",@progbits
; Kernel info:
; codeLenInByte = 21252
; NumSgprs: 84
; NumVgprs: 256
; NumAgprs: 24
; TotalNumVgprs: 280
; ScratchSize: 0
; MemoryBound: 0
; FloatMode: 240
; IeeeMode: 1
; LDSByteSize: 5304 bytes/workgroup (compile time only)
; SGPRBlocks: 10
; VGPRBlocks: 34
; NumSGPRsForWavesPerEU: 84
; NumVGPRsForWavesPerEU: 280
; AccumOffset: 256
; Occupancy: 1
; WaveLimiterHint : 1
; COMPUTE_PGM_RSRC2:SCRATCH_EN: 0
; COMPUTE_PGM_RSRC2:USER_SGPR: 2
; COMPUTE_PGM_RSRC2:TRAP_HANDLER: 0
; COMPUTE_PGM_RSRC2:TGID_X_EN: 1
; COMPUTE_PGM_RSRC2:TGID_Y_EN: 0
; COMPUTE_PGM_RSRC2:TGID_Z_EN: 0
; COMPUTE_PGM_RSRC2:TIDIG_COMP_CNT: 0
; COMPUTE_PGM_RSRC3_GFX90A:ACCUM_OFFSET: 63
; COMPUTE_PGM_RSRC3_GFX90A:TG_SPLIT: 0
	.text
	.p2alignl 6, 3212836864
	.fill 256, 4, 3212836864
	.type	__hip_cuid_8d23661c24a530e6,@object ; @__hip_cuid_8d23661c24a530e6
	.section	.bss,"aw",@nobits
	.globl	__hip_cuid_8d23661c24a530e6
__hip_cuid_8d23661c24a530e6:
	.byte	0                               ; 0x0
	.size	__hip_cuid_8d23661c24a530e6, 1

	.ident	"AMD clang version 19.0.0git (https://github.com/RadeonOpenCompute/llvm-project roc-6.4.0 25133 c7fe45cf4b819c5991fe208aaa96edf142730f1d)"
	.section	".note.GNU-stack","",@progbits
	.addrsig
	.addrsig_sym __hip_cuid_8d23661c24a530e6
	.amdgpu_metadata
---
amdhsa.kernels:
  - .agpr_count:     24
    .args:
      - .actual_access:  read_only
        .address_space:  global
        .offset:         0
        .size:           8
        .value_kind:     global_buffer
      - .actual_access:  read_only
        .address_space:  global
        .offset:         8
        .size:           8
        .value_kind:     global_buffer
      - .actual_access:  read_only
        .address_space:  global
        .offset:         16
        .size:           8
        .value_kind:     global_buffer
      - .actual_access:  read_only
        .address_space:  global
        .offset:         24
        .size:           8
        .value_kind:     global_buffer
      - .actual_access:  read_only
        .address_space:  global
        .offset:         32
        .size:           8
        .value_kind:     global_buffer
      - .offset:         40
        .size:           8
        .value_kind:     by_value
      - .address_space:  global
        .offset:         48
        .size:           8
        .value_kind:     global_buffer
      - .address_space:  global
        .offset:         56
        .size:           8
        .value_kind:     global_buffer
      - .address_space:  global
        .offset:         64
        .size:           8
        .value_kind:     global_buffer
      - .address_space:  global
        .offset:         72
        .size:           8
        .value_kind:     global_buffer
      - .offset:         80
        .size:           4
        .value_kind:     by_value
      - .address_space:  global
        .offset:         88
        .size:           8
        .value_kind:     global_buffer
      - .address_space:  global
        .offset:         96
        .size:           8
        .value_kind:     global_buffer
    .group_segment_fixed_size: 5304
    .kernarg_segment_align: 8
    .kernarg_segment_size: 104
    .language:       OpenCL C
    .language_version:
      - 2
      - 0
    .max_flat_workgroup_size: 51
    .name:           bluestein_single_fwd_len663_dim1_sp_op_CI_CI
    .private_segment_fixed_size: 0
    .sgpr_count:     84
    .sgpr_spill_count: 0
    .symbol:         bluestein_single_fwd_len663_dim1_sp_op_CI_CI.kd
    .uniform_work_group_size: 1
    .uses_dynamic_stack: false
    .vgpr_count:     280
    .vgpr_spill_count: 0
    .wavefront_size: 64
amdhsa.target:   amdgcn-amd-amdhsa--gfx950
amdhsa.version:
  - 1
  - 2
...

	.end_amdgpu_metadata
